;; amdgpu-corpus repo=ROCm/rocFFT kind=compiled arch=gfx1030 opt=O3
	.text
	.amdgcn_target "amdgcn-amd-amdhsa--gfx1030"
	.amdhsa_code_object_version 6
	.protected	fft_rtc_back_len1960_factors_4_7_2_7_5_wgs_56_tpt_56_halfLds_sp_op_CI_CI_unitstride_sbrr_R2C_dirReg ; -- Begin function fft_rtc_back_len1960_factors_4_7_2_7_5_wgs_56_tpt_56_halfLds_sp_op_CI_CI_unitstride_sbrr_R2C_dirReg
	.globl	fft_rtc_back_len1960_factors_4_7_2_7_5_wgs_56_tpt_56_halfLds_sp_op_CI_CI_unitstride_sbrr_R2C_dirReg
	.p2align	8
	.type	fft_rtc_back_len1960_factors_4_7_2_7_5_wgs_56_tpt_56_halfLds_sp_op_CI_CI_unitstride_sbrr_R2C_dirReg,@function
fft_rtc_back_len1960_factors_4_7_2_7_5_wgs_56_tpt_56_halfLds_sp_op_CI_CI_unitstride_sbrr_R2C_dirReg: ; @fft_rtc_back_len1960_factors_4_7_2_7_5_wgs_56_tpt_56_halfLds_sp_op_CI_CI_unitstride_sbrr_R2C_dirReg
; %bb.0:
	s_clause 0x2
	s_load_dwordx4 s[12:15], s[4:5], 0x0
	s_load_dwordx4 s[8:11], s[4:5], 0x58
	;; [unrolled: 1-line block ×3, first 2 shown]
	v_mul_u32_u24_e32 v1, 0x493, v0
	v_mov_b32_e32 v3, 0
	v_add_nc_u32_sdwa v5, s6, v1 dst_sel:DWORD dst_unused:UNUSED_PAD src0_sel:DWORD src1_sel:WORD_1
	v_mov_b32_e32 v1, 0
	v_mov_b32_e32 v6, v3
	v_mov_b32_e32 v2, 0
	s_waitcnt lgkmcnt(0)
	v_cmp_lt_u64_e64 s0, s[14:15], 2
	s_and_b32 vcc_lo, exec_lo, s0
	s_cbranch_vccnz .LBB0_8
; %bb.1:
	s_load_dwordx2 s[0:1], s[4:5], 0x10
	v_mov_b32_e32 v1, 0
	v_mov_b32_e32 v2, 0
	s_add_u32 s2, s18, 8
	s_addc_u32 s3, s19, 0
	s_add_u32 s6, s16, 8
	s_addc_u32 s7, s17, 0
	v_mov_b32_e32 v63, v2
	v_mov_b32_e32 v62, v1
	s_mov_b64 s[22:23], 1
	s_waitcnt lgkmcnt(0)
	s_add_u32 s20, s0, 8
	s_addc_u32 s21, s1, 0
.LBB0_2:                                ; =>This Inner Loop Header: Depth=1
	s_load_dwordx2 s[24:25], s[20:21], 0x0
                                        ; implicit-def: $vgpr64_vgpr65
	s_mov_b32 s0, exec_lo
	s_waitcnt lgkmcnt(0)
	v_or_b32_e32 v4, s25, v6
	v_cmpx_ne_u64_e32 0, v[3:4]
	s_xor_b32 s1, exec_lo, s0
	s_cbranch_execz .LBB0_4
; %bb.3:                                ;   in Loop: Header=BB0_2 Depth=1
	v_cvt_f32_u32_e32 v4, s24
	v_cvt_f32_u32_e32 v7, s25
	s_sub_u32 s0, 0, s24
	s_subb_u32 s26, 0, s25
	v_fmac_f32_e32 v4, 0x4f800000, v7
	v_rcp_f32_e32 v4, v4
	v_mul_f32_e32 v4, 0x5f7ffffc, v4
	v_mul_f32_e32 v7, 0x2f800000, v4
	v_trunc_f32_e32 v7, v7
	v_fmac_f32_e32 v4, 0xcf800000, v7
	v_cvt_u32_f32_e32 v7, v7
	v_cvt_u32_f32_e32 v4, v4
	v_mul_lo_u32 v8, s0, v7
	v_mul_hi_u32 v9, s0, v4
	v_mul_lo_u32 v10, s26, v4
	v_add_nc_u32_e32 v8, v9, v8
	v_mul_lo_u32 v9, s0, v4
	v_add_nc_u32_e32 v8, v8, v10
	v_mul_hi_u32 v10, v4, v9
	v_mul_lo_u32 v11, v4, v8
	v_mul_hi_u32 v12, v4, v8
	v_mul_hi_u32 v13, v7, v9
	v_mul_lo_u32 v9, v7, v9
	v_mul_hi_u32 v14, v7, v8
	v_mul_lo_u32 v8, v7, v8
	v_add_co_u32 v10, vcc_lo, v10, v11
	v_add_co_ci_u32_e32 v11, vcc_lo, 0, v12, vcc_lo
	v_add_co_u32 v9, vcc_lo, v10, v9
	v_add_co_ci_u32_e32 v9, vcc_lo, v11, v13, vcc_lo
	v_add_co_ci_u32_e32 v10, vcc_lo, 0, v14, vcc_lo
	v_add_co_u32 v8, vcc_lo, v9, v8
	v_add_co_ci_u32_e32 v9, vcc_lo, 0, v10, vcc_lo
	v_add_co_u32 v4, vcc_lo, v4, v8
	v_add_co_ci_u32_e32 v7, vcc_lo, v7, v9, vcc_lo
	v_mul_hi_u32 v8, s0, v4
	v_mul_lo_u32 v10, s26, v4
	v_mul_lo_u32 v9, s0, v7
	v_add_nc_u32_e32 v8, v8, v9
	v_mul_lo_u32 v9, s0, v4
	v_add_nc_u32_e32 v8, v8, v10
	v_mul_hi_u32 v10, v4, v9
	v_mul_lo_u32 v11, v4, v8
	v_mul_hi_u32 v12, v4, v8
	v_mul_hi_u32 v13, v7, v9
	v_mul_lo_u32 v9, v7, v9
	v_mul_hi_u32 v14, v7, v8
	v_mul_lo_u32 v8, v7, v8
	v_add_co_u32 v10, vcc_lo, v10, v11
	v_add_co_ci_u32_e32 v11, vcc_lo, 0, v12, vcc_lo
	v_add_co_u32 v9, vcc_lo, v10, v9
	v_add_co_ci_u32_e32 v9, vcc_lo, v11, v13, vcc_lo
	v_add_co_ci_u32_e32 v10, vcc_lo, 0, v14, vcc_lo
	v_add_co_u32 v8, vcc_lo, v9, v8
	v_add_co_ci_u32_e32 v9, vcc_lo, 0, v10, vcc_lo
	v_add_co_u32 v4, vcc_lo, v4, v8
	v_add_co_ci_u32_e32 v11, vcc_lo, v7, v9, vcc_lo
	v_mul_hi_u32 v13, v5, v4
	v_mad_u64_u32 v[9:10], null, v6, v4, 0
	v_mad_u64_u32 v[7:8], null, v5, v11, 0
	;; [unrolled: 1-line block ×3, first 2 shown]
	v_add_co_u32 v4, vcc_lo, v13, v7
	v_add_co_ci_u32_e32 v7, vcc_lo, 0, v8, vcc_lo
	v_add_co_u32 v4, vcc_lo, v4, v9
	v_add_co_ci_u32_e32 v4, vcc_lo, v7, v10, vcc_lo
	v_add_co_ci_u32_e32 v7, vcc_lo, 0, v12, vcc_lo
	v_add_co_u32 v4, vcc_lo, v4, v11
	v_add_co_ci_u32_e32 v9, vcc_lo, 0, v7, vcc_lo
	v_mul_lo_u32 v10, s25, v4
	v_mad_u64_u32 v[7:8], null, s24, v4, 0
	v_mul_lo_u32 v11, s24, v9
	v_sub_co_u32 v7, vcc_lo, v5, v7
	v_add3_u32 v8, v8, v11, v10
	v_sub_nc_u32_e32 v10, v6, v8
	v_subrev_co_ci_u32_e64 v10, s0, s25, v10, vcc_lo
	v_add_co_u32 v11, s0, v4, 2
	v_add_co_ci_u32_e64 v12, s0, 0, v9, s0
	v_sub_co_u32 v13, s0, v7, s24
	v_sub_co_ci_u32_e32 v8, vcc_lo, v6, v8, vcc_lo
	v_subrev_co_ci_u32_e64 v10, s0, 0, v10, s0
	v_cmp_le_u32_e32 vcc_lo, s24, v13
	v_cmp_eq_u32_e64 s0, s25, v8
	v_cndmask_b32_e64 v13, 0, -1, vcc_lo
	v_cmp_le_u32_e32 vcc_lo, s25, v10
	v_cndmask_b32_e64 v14, 0, -1, vcc_lo
	v_cmp_le_u32_e32 vcc_lo, s24, v7
	;; [unrolled: 2-line block ×3, first 2 shown]
	v_cndmask_b32_e64 v15, 0, -1, vcc_lo
	v_cmp_eq_u32_e32 vcc_lo, s25, v10
	v_cndmask_b32_e64 v7, v15, v7, s0
	v_cndmask_b32_e32 v10, v14, v13, vcc_lo
	v_add_co_u32 v13, vcc_lo, v4, 1
	v_add_co_ci_u32_e32 v14, vcc_lo, 0, v9, vcc_lo
	v_cmp_ne_u32_e32 vcc_lo, 0, v10
	v_cndmask_b32_e32 v8, v14, v12, vcc_lo
	v_cndmask_b32_e32 v10, v13, v11, vcc_lo
	v_cmp_ne_u32_e32 vcc_lo, 0, v7
	v_cndmask_b32_e32 v65, v9, v8, vcc_lo
	v_cndmask_b32_e32 v64, v4, v10, vcc_lo
.LBB0_4:                                ;   in Loop: Header=BB0_2 Depth=1
	s_andn2_saveexec_b32 s0, s1
	s_cbranch_execz .LBB0_6
; %bb.5:                                ;   in Loop: Header=BB0_2 Depth=1
	v_cvt_f32_u32_e32 v4, s24
	s_sub_i32 s1, 0, s24
	v_mov_b32_e32 v65, v3
	v_rcp_iflag_f32_e32 v4, v4
	v_mul_f32_e32 v4, 0x4f7ffffe, v4
	v_cvt_u32_f32_e32 v4, v4
	v_mul_lo_u32 v7, s1, v4
	v_mul_hi_u32 v7, v4, v7
	v_add_nc_u32_e32 v4, v4, v7
	v_mul_hi_u32 v4, v5, v4
	v_mul_lo_u32 v7, v4, s24
	v_add_nc_u32_e32 v8, 1, v4
	v_sub_nc_u32_e32 v7, v5, v7
	v_subrev_nc_u32_e32 v9, s24, v7
	v_cmp_le_u32_e32 vcc_lo, s24, v7
	v_cndmask_b32_e32 v7, v7, v9, vcc_lo
	v_cndmask_b32_e32 v4, v4, v8, vcc_lo
	v_cmp_le_u32_e32 vcc_lo, s24, v7
	v_add_nc_u32_e32 v8, 1, v4
	v_cndmask_b32_e32 v64, v4, v8, vcc_lo
.LBB0_6:                                ;   in Loop: Header=BB0_2 Depth=1
	s_or_b32 exec_lo, exec_lo, s0
	v_mul_lo_u32 v4, v65, s24
	v_mul_lo_u32 v9, v64, s25
	s_load_dwordx2 s[0:1], s[6:7], 0x0
	v_mad_u64_u32 v[7:8], null, v64, s24, 0
	s_load_dwordx2 s[24:25], s[2:3], 0x0
	s_add_u32 s22, s22, 1
	s_addc_u32 s23, s23, 0
	s_add_u32 s2, s2, 8
	s_addc_u32 s3, s3, 0
	s_add_u32 s6, s6, 8
	v_add3_u32 v4, v8, v9, v4
	v_sub_co_u32 v5, vcc_lo, v5, v7
	s_addc_u32 s7, s7, 0
	s_add_u32 s20, s20, 8
	v_sub_co_ci_u32_e32 v4, vcc_lo, v6, v4, vcc_lo
	s_addc_u32 s21, s21, 0
	s_waitcnt lgkmcnt(0)
	v_mul_lo_u32 v6, s0, v4
	v_mul_lo_u32 v7, s1, v5
	v_mad_u64_u32 v[1:2], null, s0, v5, v[1:2]
	v_mul_lo_u32 v4, s24, v4
	v_mul_lo_u32 v8, s25, v5
	v_mad_u64_u32 v[62:63], null, s24, v5, v[62:63]
	v_cmp_ge_u64_e64 s0, s[22:23], s[14:15]
	v_add3_u32 v2, v7, v2, v6
	v_add3_u32 v63, v8, v63, v4
	s_and_b32 vcc_lo, exec_lo, s0
	s_cbranch_vccnz .LBB0_9
; %bb.7:                                ;   in Loop: Header=BB0_2 Depth=1
	v_mov_b32_e32 v5, v64
	v_mov_b32_e32 v6, v65
	s_branch .LBB0_2
.LBB0_8:
	v_mov_b32_e32 v63, v2
	v_mov_b32_e32 v65, v6
	;; [unrolled: 1-line block ×4, first 2 shown]
.LBB0_9:
	s_load_dwordx2 s[0:1], s[4:5], 0x28
	v_mul_hi_u32 v3, 0x4924925, v0
	s_lshl_b64 s[4:5], s[14:15], 3
                                        ; implicit-def: $vgpr60
                                        ; implicit-def: $vgpr66
                                        ; implicit-def: $vgpr74
                                        ; implicit-def: $vgpr73
                                        ; implicit-def: $vgpr72
                                        ; implicit-def: $vgpr71
                                        ; implicit-def: $vgpr70
                                        ; implicit-def: $vgpr69
                                        ; implicit-def: $vgpr68
	s_add_u32 s2, s18, s4
	s_addc_u32 s3, s19, s5
	s_waitcnt lgkmcnt(0)
	v_cmp_gt_u64_e32 vcc_lo, s[0:1], v[64:65]
	v_cmp_le_u64_e64 s0, s[0:1], v[64:65]
	s_and_saveexec_b32 s1, s0
	s_xor_b32 s0, exec_lo, s1
; %bb.10:
	v_mul_u32_u24_e32 v1, 56, v3
                                        ; implicit-def: $vgpr3
	v_sub_nc_u32_e32 v60, v0, v1
                                        ; implicit-def: $vgpr0
                                        ; implicit-def: $vgpr1_vgpr2
	v_add_nc_u32_e32 v66, 56, v60
	v_add_nc_u32_e32 v74, 0x70, v60
	;; [unrolled: 1-line block ×7, first 2 shown]
	v_or_b32_e32 v68, 0x1c0, v60
; %bb.11:
	s_andn2_saveexec_b32 s1, s0
	s_cbranch_execz .LBB0_13
; %bb.12:
	s_add_u32 s4, s16, s4
	s_addc_u32 s5, s17, s5
	v_mul_u32_u24_e32 v3, 56, v3
	s_load_dwordx2 s[4:5], s[4:5], 0x0
	v_sub_nc_u32_e32 v60, v0, v3
	v_lshlrev_b64 v[0:1], 3, v[1:2]
	v_or_b32_e32 v68, 0x1c0, v60
	v_lshlrev_b32_e32 v61, 3, v60
	v_add_nc_u32_e32 v66, 56, v60
	v_add_nc_u32_e32 v74, 0x70, v60
	;; [unrolled: 1-line block ×3, first 2 shown]
	v_lshlrev_b32_e32 v2, 3, v68
	v_or_b32_e32 v10, 0x3800, v61
	v_add_nc_u32_e32 v72, 0xe0, v60
	v_add_nc_u32_e32 v71, 0x118, v60
	;; [unrolled: 1-line block ×4, first 2 shown]
	s_waitcnt lgkmcnt(0)
	v_mul_lo_u32 v6, s5, v64
	v_mul_lo_u32 v7, s4, v65
	v_mad_u64_u32 v[4:5], null, s4, v64, 0
	v_add3_u32 v5, v5, v7, v6
	v_or_b32_e32 v6, 0x2a00, v61
	v_lshlrev_b64 v[3:4], 3, v[4:5]
	v_or_b32_e32 v5, 0x1c00, v61
	v_add_co_u32 v3, s0, s8, v3
	v_add_co_ci_u32_e64 v4, s0, s9, v4, s0
	v_add_co_u32 v8, s0, v3, v0
	v_add_co_ci_u32_e64 v9, s0, v4, v1, s0
	;; [unrolled: 2-line block ×13, first 2 shown]
	s_clause 0xb
	global_load_dwordx2 v[14:15], v[0:1], off offset:1792
	global_load_dwordx2 v[16:17], v[10:11], off offset:192
	;; [unrolled: 1-line block ×6, first 2 shown]
	global_load_dwordx2 v[2:3], v[2:3], off
	global_load_dwordx2 v[10:11], v[10:11], off offset:1984
	global_load_dwordx2 v[26:27], v[0:1], off
	global_load_dwordx2 v[28:29], v[0:1], off offset:448
	global_load_dwordx2 v[30:31], v[0:1], off offset:896
	global_load_dwordx2 v[32:33], v[0:1], off offset:1344
	v_add_co_u32 v0, s0, 0x3800, v0
	v_add_co_ci_u32_e64 v1, s0, 0, v1, s0
	s_clause 0x16
	global_load_dwordx2 v[42:43], v[12:13], off offset:1280
	global_load_dwordx2 v[12:13], v[12:13], off offset:1728
	;; [unrolled: 1-line block ×6, first 2 shown]
	global_load_dwordx2 v[4:5], v[4:5], off
	global_load_dwordx2 v[34:35], v[34:35], off offset:1920
	global_load_dwordx2 v[52:53], v[36:37], off offset:768
	;; [unrolled: 1-line block ×7, first 2 shown]
	global_load_dwordx2 v[6:7], v[6:7], off
	global_load_dwordx2 v[38:39], v[38:39], off offset:1856
	global_load_dwordx2 v[77:78], v[40:41], off offset:256
	global_load_dwordx2 v[79:80], v[40:41], off offset:704
	global_load_dwordx2 v[81:82], v[40:41], off offset:1152
	global_load_dwordx2 v[40:41], v[40:41], off offset:1600
	global_load_dwordx2 v[8:9], v[8:9], off
	global_load_dwordx2 v[83:84], v[0:1], off offset:448
	global_load_dwordx2 v[0:1], v[0:1], off offset:896
	v_add_nc_u32_e32 v61, 0, v61
	v_add_nc_u32_e32 v67, 0x400, v61
	;; [unrolled: 1-line block ×11, first 2 shown]
	s_waitcnt vmcnt(25)
	ds_write2_b64 v61, v[26:27], v[28:29] offset1:56
	s_waitcnt vmcnt(23)
	ds_write2_b64 v61, v[30:31], v[32:33] offset0:112 offset1:168
	ds_write2_b64 v67, v[14:15], v[16:17] offset0:96 offset1:152
	;; [unrolled: 1-line block ×5, first 2 shown]
	s_waitcnt vmcnt(21)
	ds_write2_b64 v86, v[42:43], v[12:13] offset0:160 offset1:216
	s_waitcnt vmcnt(19)
	ds_write2_b64 v87, v[44:45], v[46:47] offset0:16 offset1:72
	;; [unrolled: 2-line block ×10, first 2 shown]
	s_waitcnt vmcnt(1)
	ds_write2_b64 v93, v[8:9], v[83:84] offset1:56
	s_waitcnt vmcnt(0)
	ds_write_b64 v61, v[0:1] offset:15232
.LBB0_13:
	s_or_b32 exec_lo, exec_lo, s1
	v_lshl_add_u32 v107, v60, 3, 0
	s_load_dwordx2 s[2:3], s[2:3], 0x0
	s_waitcnt lgkmcnt(0)
	s_barrier
	buffer_gl0_inv
	v_add_nc_u32_e32 v48, 0x1c00, v107
	v_add_nc_u32_e32 v12, 0x800, v107
	;; [unrolled: 1-line block ×4, first 2 shown]
	ds_read2_b64 v[4:7], v107 offset1:56
	ds_read2_b64 v[8:11], v48 offset0:84 offset1:140
	ds_read2_b64 v[0:3], v12 offset0:192 offset1:234
	;; [unrolled: 1-line block ×3, first 2 shown]
	v_add_nc_u32_e32 v25, 0x3400, v107
	v_add_nc_u32_e32 v67, 0x1000, v107
	;; [unrolled: 1-line block ×4, first 2 shown]
	ds_read2_b64 v[17:20], v107 offset0:112 offset1:168
	ds_read2_b64 v[21:24], v21 offset0:96 offset1:152
	;; [unrolled: 1-line block ×7, first 2 shown]
	v_add_nc_u32_e32 v86, 0x3000, v107
	v_add_nc_u32_e32 v82, 0x1800, v107
	;; [unrolled: 1-line block ×3, first 2 shown]
	ds_read2_b64 v[53:56], v85 offset0:180 offset1:236
	v_lshl_add_u32 v61, v71, 5, 0
	ds_read2_b64 v[49:52], v86 offset0:102 offset1:158
	ds_read2_b64 v[75:78], v82 offset0:2 offset1:58
	s_mov_b32 s1, exec_lo
	s_waitcnt lgkmcnt(12)
	v_sub_f32_e32 v45, v4, v8
	v_sub_f32_e32 v46, v5, v9
	s_waitcnt lgkmcnt(10)
	v_sub_f32_e32 v9, v2, v15
	v_sub_f32_e32 v8, v3, v16
	;; [unrolled: 1-line block ×3, first 2 shown]
	v_fma_f32 v4, v4, 2.0, -v45
	v_fma_f32 v5, v5, 2.0, -v46
	;; [unrolled: 1-line block ×4, first 2 shown]
	v_add_f32_e32 v8, v45, v8
	v_sub_f32_e32 v9, v46, v9
	s_waitcnt lgkmcnt(5)
	v_sub_f32_e32 v10, v29, v33
	v_sub_f32_e32 v15, v4, v2
	;; [unrolled: 1-line block ×5, first 2 shown]
	v_fma_f32 v45, v45, 2.0, -v8
	v_fma_f32 v46, v46, 2.0, -v9
	;; [unrolled: 1-line block ×4, first 2 shown]
	v_lshl_add_u32 v34, v60, 5, 0
	v_fma_f32 v59, v6, 2.0, -v47
	v_fma_f32 v6, v29, 2.0, -v10
	;; [unrolled: 1-line block ×4, first 2 shown]
	ds_read2_b64 v[87:90], v12 offset0:80 offset1:136
	ds_read2_b64 v[91:94], v81 offset0:36 offset1:92
	;; [unrolled: 1-line block ×4, first 2 shown]
	s_waitcnt lgkmcnt(0)
	s_barrier
	buffer_gl0_inv
	ds_write2_b64 v34, v[57:58], v[45:46] offset1:1
	ds_write2_b64 v34, v[15:16], v[8:9] offset0:2 offset1:3
	v_sub_f32_e32 v7, v29, v7
	v_sub_f32_e32 v30, v31, v35
	;; [unrolled: 1-line block ×6, first 2 shown]
	v_add_f32_e32 v8, v47, v11
	v_sub_f32_e32 v9, v33, v10
	v_fma_f32 v11, v29, 2.0, -v7
	v_fma_f32 v29, v31, 2.0, -v30
	;; [unrolled: 1-line block ×8, first 2 shown]
	v_lshl_add_u32 v33, v66, 5, 0
	v_sub_f32_e32 v17, v32, v29
	v_add_f32_e32 v29, v35, v34
	v_sub_f32_e32 v18, v37, v31
	v_sub_f32_e32 v30, v36, v30
	;; [unrolled: 1-line block ×4, first 2 shown]
	ds_write2_b64 v33, v[10:11], v[15:16] offset1:1
	v_fma_f32 v10, v32, 2.0, -v17
	v_fma_f32 v15, v35, 2.0, -v29
	v_sub_f32_e32 v32, v20, v40
	v_sub_f32_e32 v35, v42, v50
	v_fma_f32 v11, v37, 2.0, -v18
	v_fma_f32 v16, v36, 2.0, -v30
	v_lshl_add_u32 v36, v74, 5, 0
	v_fma_f32 v19, v19, 2.0, -v31
	v_fma_f32 v37, v41, 2.0, -v34
	;; [unrolled: 1-line block ×4, first 2 shown]
	ds_write2_b64 v33, v[6:7], v[8:9] offset0:2 offset1:3
	ds_write2_b64 v36, v[10:11], v[15:16] offset1:1
	ds_write2_b64 v36, v[17:18], v[29:30] offset0:2 offset1:3
	v_sub_f32_e32 v9, v32, v34
	v_sub_f32_e32 v29, v43, v51
	;; [unrolled: 1-line block ×7, first 2 shown]
	v_fma_f32 v17, v43, 2.0, -v29
	v_fma_f32 v18, v44, 2.0, -v30
	;; [unrolled: 1-line block ×4, first 2 shown]
	v_add_f32_e32 v8, v31, v35
	v_fma_f32 v10, v19, 2.0, -v6
	v_fma_f32 v16, v32, 2.0, -v9
	v_add_f32_e32 v19, v33, v30
	v_sub_f32_e32 v32, v23, v55
	v_sub_f32_e32 v25, v75, v25
	v_fma_f32 v11, v20, 2.0, -v7
	v_sub_f32_e32 v17, v21, v17
	v_sub_f32_e32 v18, v22, v18
	;; [unrolled: 1-line block ×3, first 2 shown]
	v_fma_f32 v15, v31, 2.0, -v8
	v_lshl_add_u32 v31, v73, 5, 0
	v_fma_f32 v29, v33, 2.0, -v19
	v_sub_f32_e32 v33, v24, v56
	v_sub_f32_e32 v26, v76, v26
	v_fma_f32 v23, v23, 2.0, -v32
	v_fma_f32 v35, v75, 2.0, -v25
	;; [unrolled: 1-line block ×5, first 2 shown]
	v_lshl_add_u32 v34, v72, 5, 0
	v_fma_f32 v24, v24, 2.0, -v33
	v_fma_f32 v36, v76, 2.0, -v26
	ds_write2_b64 v31, v[10:11], v[15:16] offset1:1
	ds_write2_b64 v31, v[6:7], v[8:9] offset0:2 offset1:3
	ds_write2_b64 v34, v[21:22], v[29:30] offset1:1
	v_sub_f32_e32 v10, v23, v35
	ds_write2_b64 v34, v[17:18], v[19:20] offset0:2 offset1:3
	v_sub_f32_e32 v19, v77, v27
	v_sub_f32_e32 v11, v24, v36
	v_add_f32_e32 v15, v32, v26
	v_fma_f32 v6, v23, 2.0, -v10
	v_sub_f32_e32 v23, v87, v91
	v_sub_f32_e32 v16, v33, v25
	v_fma_f32 v7, v24, 2.0, -v11
	v_sub_f32_e32 v20, v78, v28
	v_fma_f32 v17, v77, 2.0, -v19
	v_sub_f32_e32 v24, v88, v92
	v_fma_f32 v21, v87, 2.0, -v23
	v_fma_f32 v8, v32, 2.0, -v15
	v_fma_f32 v9, v33, 2.0, -v16
	;; [unrolled: 1-line block ×3, first 2 shown]
	v_sub_f32_e32 v27, v89, v93
	v_sub_f32_e32 v28, v90, v94
	v_fma_f32 v22, v88, 2.0, -v24
	v_sub_f32_e32 v17, v21, v17
	v_sub_f32_e32 v29, v2, v95
	;; [unrolled: 1-line block ×3, first 2 shown]
	ds_write2_b64 v61, v[6:7], v[8:9] offset1:1
	v_fma_f32 v25, v89, 2.0, -v27
	v_fma_f32 v26, v90, 2.0, -v28
	v_sub_f32_e32 v18, v22, v18
	v_sub_f32_e32 v6, v0, v13
	v_fma_f32 v13, v21, 2.0, -v17
	v_fma_f32 v21, v2, 2.0, -v29
	;; [unrolled: 1-line block ×3, first 2 shown]
	v_sub_f32_e32 v7, v1, v14
	v_sub_f32_e32 v8, v4, v97
	;; [unrolled: 1-line block ×3, first 2 shown]
	v_add_f32_e32 v2, v23, v20
	v_sub_f32_e32 v3, v24, v19
	v_fma_f32 v14, v22, 2.0, -v18
	v_sub_f32_e32 v19, v25, v21
	v_sub_f32_e32 v20, v26, v31
	v_add_f32_e32 v21, v27, v30
	v_sub_f32_e32 v22, v28, v29
	v_fma_f32 v23, v23, 2.0, -v2
	v_fma_f32 v24, v24, 2.0, -v3
	ds_write2_b64 v61, v[10:11], v[15:16] offset0:2 offset1:3
	v_lshl_add_u32 v10, v70, 5, 0
	v_add_f32_e32 v56, v6, v9
	v_sub_f32_e32 v57, v7, v8
	v_fma_f32 v25, v25, 2.0, -v19
	v_fma_f32 v26, v26, 2.0, -v20
	;; [unrolled: 1-line block ×4, first 2 shown]
	v_lshl_add_u32 v11, v69, 5, 0
	ds_write2_b64 v10, v[13:14], v[23:24] offset1:1
	ds_write2_b64 v10, v[17:18], v[2:3] offset0:2 offset1:3
	ds_write2_b64 v11, v[25:26], v[27:28] offset1:1
	ds_write2_b64 v11, v[19:20], v[21:22] offset0:2 offset1:3
	v_cmpx_gt_u32_e32 42, v60
	s_cbranch_execz .LBB0_15
; %bb.14:
	v_fma_f32 v10, v1, 2.0, -v7
	v_fma_f32 v1, v5, 2.0, -v9
	;; [unrolled: 1-line block ×6, first 2 shown]
	v_sub_f32_e32 v1, v10, v1
	v_lshl_add_u32 v6, v68, 5, 0
	v_sub_f32_e32 v0, v9, v0
	v_fma_f32 v5, v10, 2.0, -v1
	v_fma_f32 v4, v9, 2.0, -v0
	ds_write2_b64 v6, v[4:5], v[2:3] offset1:1
	ds_write2_b64 v6, v[0:1], v[56:57] offset0:2 offset1:3
.LBB0_15:
	s_or_b32 exec_lo, exec_lo, s1
	v_and_b32_e32 v90, 3, v60
	s_waitcnt lgkmcnt(0)
	s_barrier
	buffer_gl0_inv
	v_mad_i32_i24 v88, 0xffffffe8, v71, v61
	v_mul_u32_u24_e32 v0, 6, v90
	v_add_nc_u32_e32 v89, 0x2400, v107
	v_lshrrev_b32_e32 v58, 2, v60
	v_lshl_add_u32 v108, v74, 3, 0
	v_lshl_add_u32 v80, v66, 3, 0
	v_lshlrev_b32_e32 v0, 3, v0
	v_lshl_add_u32 v87, v72, 3, 0
	v_mul_u32_u24_e32 v58, 28, v58
	v_lshl_add_u32 v83, v73, 3, 0
	v_cmp_gt_u32_e64 s0, 28, v60
	s_clause 0x2
	global_load_dwordx4 v[24:27], v0, s[12:13]
	global_load_dwordx4 v[4:7], v0, s[12:13] offset:16
	global_load_dwordx4 v[0:3], v0, s[12:13] offset:32
	ds_read2_b64 v[44:47], v67 offset0:48 offset1:104
	ds_read2_b64 v[40:43], v12 offset0:80 offset1:136
	;; [unrolled: 1-line block ×11, first 2 shown]
	ds_read_b64 v[75:76], v88
	ds_read2_b64 v[94:97], v84 offset1:56
	ds_read2_b64 v[98:101], v86 offset0:32 offset1:88
	ds_read2_b64 v[102:105], v89 offset0:80 offset1:136
	ds_read_b64 v[109:110], v108
	ds_read_b64 v[111:112], v80
	v_or_b32_e32 v91, v58, v90
	ds_read_b64 v[113:114], v107 offset:15232
	ds_read_b64 v[115:116], v107
	ds_read_b64 v[58:59], v87
	;; [unrolled: 1-line block ×3, first 2 shown]
	s_waitcnt vmcnt(0) lgkmcnt(0)
	s_barrier
	buffer_gl0_inv
	v_lshl_add_u32 v106, v91, 3, 0
	v_mul_f32_e32 v117, v76, v25
	v_mul_f32_e32 v118, v45, v27
	;; [unrolled: 1-line block ×23, first 2 shown]
	v_fmac_f32_e32 v118, v44, v26
	v_fma_f32 v44, v45, v26, -v119
	v_fmac_f32_e32 v122, v46, v26
	v_fma_f32 v45, v47, v26, -v123
	v_mul_f32_e32 v46, v20, v7
	v_mul_f32_e32 v47, v23, v7
	v_mul_f32_e32 v119, v22, v7
	v_mul_f32_e32 v123, v17, v5
	v_fmac_f32_e32 v120, v40, v24
	v_fma_f32 v40, v41, v24, -v121
	v_fmac_f32_e32 v124, v42, v24
	v_fma_f32 v41, v43, v24, -v125
	v_mul_f32_e32 v42, v16, v5
	v_mul_f32_e32 v43, v19, v5
	v_mul_f32_e32 v121, v18, v5
	v_mul_f32_e32 v125, v103, v7
	;; [unrolled: 8-line block ×4, first 2 shown]
	v_mul_f32_e32 v35, v8, v7
	v_mul_f32_e32 v39, v11, v1
	v_fmac_f32_e32 v25, v28, v26
	v_fma_f32 v7, v29, v26, -v132
	v_mul_f32_e32 v26, v10, v1
	v_mul_f32_e32 v28, v13, v3
	;; [unrolled: 1-line block ×3, first 2 shown]
	v_fmac_f32_e32 v117, v75, v24
	v_fma_f32 v24, v76, v24, -v131
	v_mul_f32_e32 v75, v15, v3
	v_fmac_f32_e32 v133, v30, v4
	v_fma_f32 v30, v31, v4, -v134
	v_mul_f32_e32 v31, v14, v3
	v_mul_f32_e32 v76, v53, v1
	v_mul_f32_e32 v130, v52, v1
	v_mul_f32_e32 v131, v55, v1
	v_fmac_f32_e32 v135, v20, v6
	v_fma_f32 v20, v21, v6, -v46
	v_fmac_f32_e32 v47, v22, v6
	v_fma_f32 v21, v23, v6, -v119
	v_mul_f32_e32 v22, v54, v1
	v_mul_f32_e32 v23, v95, v3
	v_mul_f32_e32 v46, v94, v3
	v_mul_f32_e32 v119, v97, v3
	v_fmac_f32_e32 v123, v16, v4
	v_fma_f32 v42, v17, v4, -v42
	;; [unrolled: 8-line block ×3, first 2 shown]
	v_fmac_f32_e32 v129, v104, v6
	v_fma_f32 v102, v105, v6, -v38
	v_mul_f32_e32 v38, v100, v1
	v_mul_f32_e32 v17, v114, v3
	;; [unrolled: 1-line block ×3, first 2 shown]
	v_fmac_f32_e32 v136, v48, v4
	v_fma_f32 v48, v49, v4, -v33
	v_fmac_f32_e32 v27, v50, v4
	v_fma_f32 v1, v51, v4, -v34
	;; [unrolled: 2-line block ×9, first 2 shown]
	v_fma_f32 v26, v97, v2, -v19
	v_add_f32_e32 v12, v117, v28
	v_add_f32_e32 v13, v118, v39
	;; [unrolled: 1-line block ×4, first 2 shown]
	v_fmac_f32_e32 v121, v98, v0
	v_fma_f32 v46, v99, v0, -v132
	v_fmac_f32_e32 v16, v100, v0
	v_fma_f32 v0, v101, v0, -v38
	v_add_f32_e32 v14, v133, v135
	v_add_f32_e32 v22, v30, v20
	v_sub_f32_e32 v28, v117, v28
	v_sub_f32_e32 v6, v24, v6
	v_sub_f32_e32 v24, v118, v39
	v_sub_f32_e32 v4, v44, v4
	v_sub_f32_e32 v29, v135, v133
	v_sub_f32_e32 v20, v20, v30
	v_add_f32_e32 v30, v120, v75
	v_add_f32_e32 v31, v122, v76
	;; [unrolled: 1-line block ×11, first 2 shown]
	v_sub_f32_e32 v8, v40, v8
	v_sub_f32_e32 v9, v45, v9
	;; [unrolled: 1-line block ×5, first 2 shown]
	v_add_f32_e32 v37, v13, v12
	v_add_f32_e32 v42, v19, v15
	v_fmac_f32_e32 v119, v96, v2
	v_fmac_f32_e32 v17, v113, v2
	v_fma_f32 v2, v114, v2, -v103
	v_add_f32_e32 v49, v43, v125
	v_sub_f32_e32 v53, v120, v75
	v_sub_f32_e32 v40, v122, v76
	;; [unrolled: 1-line block ×10, first 2 shown]
	v_add_f32_e32 v75, v29, v24
	v_sub_f32_e32 v76, v29, v24
	v_add_f32_e32 v94, v20, v4
	v_sub_f32_e32 v95, v20, v4
	v_sub_f32_e32 v12, v13, v12
	;; [unrolled: 1-line block ×5, first 2 shown]
	v_add_f32_e32 v19, v31, v30
	v_add_f32_e32 v24, v35, v34
	;; [unrolled: 1-line block ×5, first 2 shown]
	v_sub_f32_e32 v104, v21, v9
	v_sub_f32_e32 v105, v9, v8
	;; [unrolled: 1-line block ×4, first 2 shown]
	v_add_f32_e32 v14, v14, v37
	v_add_f32_e32 v22, v22, v42
	v_sub_f32_e32 v23, v124, v23
	v_sub_f32_e32 v29, v28, v29
	;; [unrolled: 1-line block ×7, first 2 shown]
	v_add_f32_e32 v100, v45, v40
	v_sub_f32_e32 v101, v45, v40
	v_sub_f32_e32 v40, v40, v53
	;; [unrolled: 1-line block ×11, first 2 shown]
	v_add_f32_e32 v114, v36, v41
	v_add_f32_e32 v118, v18, v10
	v_sub_f32_e32 v122, v11, v18
	v_sub_f32_e32 v18, v10, v11
	v_add_f32_e32 v6, v94, v6
	v_mul_f32_e32 v10, 0x3f4a47b2, v43
	v_mul_f32_e32 v37, 0x3f08b237, v76
	;; [unrolled: 1-line block ×7, first 2 shown]
	v_add_f32_e32 v19, v33, v19
	v_add_f32_e32 v24, v38, v24
	;; [unrolled: 1-line block ×5, first 2 shown]
	v_mul_f32_e32 v103, 0x3f4a47b2, v9
	v_mul_f32_e32 v120, 0x3f08b237, v120
	v_add_f32_e32 v8, v14, v115
	v_add_f32_e32 v9, v22, v116
	;; [unrolled: 1-line block ×3, first 2 shown]
	v_mul_f32_e32 v75, 0xbf5ff5aa, v15
	v_sub_f32_e32 v117, v36, v41
	v_sub_f32_e32 v41, v41, v23
	v_add_f32_e32 v38, v100, v53
	v_mul_f32_e32 v53, 0x3f08b237, v101
	v_mul_f32_e32 v95, 0x3f08b237, v104
	;; [unrolled: 1-line block ×7, first 2 shown]
	v_add_f32_e32 v104, v114, v23
	v_add_f32_e32 v114, v118, v11
	v_mul_f32_e32 v124, 0xbf5ff5aa, v18
	v_fmamk_f32 v115, v29, 0xbeae86e6, v37
	v_fmamk_f32 v116, v20, 0xbeae86e6, v43
	;; [unrolled: 1-line block ×4, first 2 shown]
	v_fma_f32 v54, 0x3f3bfb3b, v12, -v54
	v_fma_f32 v125, 0xbf3bfb3b, v12, -v10
	;; [unrolled: 1-line block ×7, first 2 shown]
	v_add_f32_e32 v10, v111, v19
	v_add_f32_e32 v11, v112, v24
	;; [unrolled: 1-line block ×4, first 2 shown]
	v_fma_f32 v110, 0xbf5ff5aa, v18, -v120
	v_fmamk_f32 v14, v14, 0xbf955555, v8
	v_fmamk_f32 v18, v22, 0xbf955555, v9
	v_sub_f32_e32 v36, v23, v36
	v_mul_f32_e32 v23, 0x3f4a47b2, v39
	v_mul_f32_e32 v39, 0x3d64c772, v44
	v_fma_f32 v29, 0x3eae86e6, v29, -v75
	v_mul_f32_e32 v50, 0x3f4a47b2, v50
	v_mul_f32_e32 v118, 0x3d64c772, v51
	;; [unrolled: 1-line block ×4, first 2 shown]
	v_fma_f32 v42, 0x3f3bfb3b, v98, -v96
	v_fma_f32 v75, 0x3f3bfb3b, v99, -v97
	;; [unrolled: 1-line block ×8, first 2 shown]
	v_fmamk_f32 v95, v21, 0xbeae86e6, v95
	v_fmamk_f32 v21, v31, 0x3d64c772, v103
	v_fmac_f32_e32 v115, 0xbee1c552, v28
	v_fmac_f32_e32 v116, 0xbee1c552, v6
	;; [unrolled: 1-line block ×4, first 2 shown]
	v_fmamk_f32 v6, v19, 0xbf955555, v10
	v_fmamk_f32 v19, v24, 0xbf955555, v11
	;; [unrolled: 1-line block ×3, first 2 shown]
	v_add_f32_e32 v31, v47, v14
	v_add_f32_e32 v33, v55, v18
	;; [unrolled: 1-line block ×3, first 2 shown]
	v_fmamk_f32 v53, v34, 0xbeae86e6, v53
	v_fmamk_f32 v30, v35, 0x3d64c772, v30
	;; [unrolled: 1-line block ×3, first 2 shown]
	v_fma_f32 v100, 0x3f3bfb3b, v45, -v39
	v_fma_f32 v45, 0xbf3bfb3b, v45, -v23
	v_fmac_f32_e32 v37, 0xbee1c552, v28
	v_fmac_f32_e32 v29, 0xbee1c552, v28
	v_add_f32_e32 v28, v125, v14
	v_add_f32_e32 v34, v20, v18
	v_add_f32_e32 v23, v15, v18
	v_fmamk_f32 v51, v51, 0x3d64c772, v50
	v_fma_f32 v101, 0x3f3bfb3b, v113, -v118
	v_fma_f32 v50, 0xbf3bfb3b, v113, -v50
	;; [unrolled: 1-line block ×3, first 2 shown]
	v_fmamk_f32 v105, v36, 0xbeae86e6, v117
	v_fma_f32 v109, 0x3eae86e6, v36, -v123
	v_fmac_f32_e32 v40, 0xbee1c552, v38
	v_fmac_f32_e32 v94, 0xbee1c552, v38
	;; [unrolled: 1-line block ×3, first 2 shown]
	v_add_f32_e32 v35, v42, v6
	v_add_f32_e32 v36, v75, v19
	;; [unrolled: 1-line block ×6, first 2 shown]
	v_sub_f32_e32 v15, v33, v115
	v_sub_f32_e32 v20, v22, v4
	v_add_f32_e32 v22, v4, v22
	v_fmamk_f32 v4, v49, 0xbf955555, v13
	v_add_f32_e32 v44, v30, v19
	v_add_f32_e32 v18, v43, v28
	v_sub_f32_e32 v19, v34, v29
	v_add_f32_e32 v21, v37, v23
	v_sub_f32_e32 v23, v23, v37
	v_sub_f32_e32 v28, v28, v43
	v_add_f32_e32 v29, v29, v34
	v_sub_f32_e32 v30, v31, v116
	v_add_f32_e32 v31, v115, v33
	v_fmac_f32_e32 v53, 0xbee1c552, v38
	v_add_f32_e32 v34, v40, v36
	v_sub_f32_e32 v36, v36, v40
	v_sub_f32_e32 v38, v41, v94
	v_add_f32_e32 v40, v94, v41
	v_add_f32_e32 v41, v95, v6
	v_sub_f32_e32 v43, v6, v95
	ds_write2_b64 v106, v[8:9], v[14:15] offset1:4
	ds_write2_b64 v106, v[18:19], v[20:21] offset0:8 offset1:12
	ds_write2_b64 v106, v[22:23], v[28:29] offset0:16 offset1:20
	ds_write_b64 v106, v[30:31] offset:192
	v_fma_f32 v6, 0x3eae86e6, v122, -v124
	v_add_f32_e32 v28, v99, v24
	v_add_f32_e32 v14, v100, v24
	;; [unrolled: 1-line block ×10, first 2 shown]
	v_fmac_f32_e32 v76, 0xbee1c552, v52
	v_fmac_f32_e32 v96, 0xbee1c552, v52
	v_sub_f32_e32 v42, v44, v53
	v_add_f32_e32 v44, v53, v44
	v_fmac_f32_e32 v105, 0xbee1c552, v104
	v_fmac_f32_e32 v109, 0xbee1c552, v104
	;; [unrolled: 1-line block ×3, first 2 shown]
	v_add_f32_e32 v51, v136, v129
	v_add_f32_e32 v23, v47, v45
	;; [unrolled: 1-line block ×4, first 2 shown]
	v_sub_f32_e32 v53, v93, v121
	v_sub_f32_e32 v54, v129, v136
	v_add_f32_e32 v18, v6, v20
	v_sub_f32_e32 v19, v4, v109
	v_sub_f32_e32 v20, v20, v6
	v_add_f32_e32 v21, v109, v4
	v_add_f32_e32 v4, v51, v23
	;; [unrolled: 1-line block ×3, first 2 shown]
	v_sub_f32_e32 v23, v24, v105
	v_add_f32_e32 v29, v105, v24
	v_sub_f32_e32 v24, v92, v119
	v_sub_f32_e32 v46, v127, v46
	;; [unrolled: 1-line block ×3, first 2 shown]
	v_add_f32_e32 v75, v54, v53
	v_sub_f32_e32 v26, v128, v26
	v_sub_f32_e32 v55, v47, v45
	;; [unrolled: 1-line block ×10, first 2 shown]
	v_add_f32_e32 v24, v75, v24
	v_add_f32_e32 v75, v48, v46
	v_sub_f32_e32 v33, v35, v76
	v_add_f32_e32 v35, v76, v35
	v_add_f32_e32 v30, v77, v4
	v_sub_f32_e32 v76, v48, v46
	v_mul_f32_e32 v45, 0x3f4a47b2, v45
	v_sub_f32_e32 v48, v26, v48
	v_sub_f32_e32 v46, v46, v26
	v_mul_f32_e32 v77, 0x3d64c772, v47
	v_add_f32_e32 v26, v75, v26
	v_mul_f32_e32 v49, 0x3f4a47b2, v49
	v_mul_f32_e32 v75, 0x3d64c772, v50
	;; [unrolled: 1-line block ×3, first 2 shown]
	v_add_f32_e32 v31, v78, v6
	v_fmamk_f32 v47, v47, 0x3d64c772, v45
	v_fma_f32 v77, 0x3f3bfb3b, v55, -v77
	v_fma_f32 v45, 0xbf3bfb3b, v55, -v45
	v_fmamk_f32 v50, v50, 0x3d64c772, v49
	v_fma_f32 v55, 0x3f3bfb3b, v51, -v75
	v_mul_f32_e32 v75, 0xbf5ff5aa, v53
	v_fma_f32 v49, 0xbf3bfb3b, v51, -v49
	v_fma_f32 v51, 0xbf5ff5aa, v53, -v52
	v_mul_f32_e32 v53, 0x3f08b237, v76
	v_fmamk_f32 v78, v54, 0xbeae86e6, v52
	v_mul_f32_e32 v52, 0xbf5ff5aa, v46
	v_fma_f32 v75, 0x3eae86e6, v54, -v75
	v_fmamk_f32 v6, v6, 0xbf955555, v31
	v_fma_f32 v54, 0xbf5ff5aa, v46, -v53
	v_fmamk_f32 v92, v48, 0xbeae86e6, v53
	v_fma_f32 v48, 0x3eae86e6, v48, -v52
	v_fmamk_f32 v4, v4, 0xbf955555, v30
	v_add_f32_e32 v93, v50, v6
	v_add_f32_e32 v53, v55, v6
	;; [unrolled: 1-line block ×3, first 2 shown]
	v_fmac_f32_e32 v78, 0xbee1c552, v24
	v_fmac_f32_e32 v54, 0xbee1c552, v26
	;; [unrolled: 1-line block ×6, first 2 shown]
	v_add_f32_e32 v24, v91, v17
	v_add_f32_e32 v26, v25, v16
	;; [unrolled: 1-line block ×5, first 2 shown]
	v_sub_f32_e32 v16, v25, v16
	v_sub_f32_e32 v5, v5, v27
	v_add_f32_e32 v37, v96, v39
	v_sub_f32_e32 v39, v39, v96
	v_add_f32_e32 v47, v47, v4
	v_add_f32_e32 v52, v77, v4
	;; [unrolled: 1-line block ×5, first 2 shown]
	v_sub_f32_e32 v17, v91, v17
	v_sub_f32_e32 v0, v7, v0
	;; [unrolled: 1-line block ×6, first 2 shown]
	v_add_f32_e32 v27, v5, v16
	v_add_f32_e32 v4, v45, v4
	;; [unrolled: 1-line block ×3, first 2 shown]
	v_sub_f32_e32 v51, v53, v51
	v_sub_f32_e32 v53, v6, v75
	v_add_f32_e32 v55, v75, v6
	v_add_f32_e32 v75, v92, v47
	;; [unrolled: 1-line block ×3, first 2 shown]
	v_sub_f32_e32 v77, v47, v92
	v_sub_f32_e32 v2, v32, v2
	;; [unrolled: 1-line block ×8, first 2 shown]
	v_add_f32_e32 v17, v27, v17
	v_add_f32_e32 v27, v1, v0
	v_mul_f32_e32 v7, 0x3f4a47b2, v7
	v_mul_f32_e32 v49, 0x3d64c772, v24
	v_sub_f32_e32 v45, v52, v54
	v_add_f32_e32 v50, v54, v52
	v_add_f32_e32 v52, v48, v4
	v_sub_f32_e32 v54, v4, v48
	v_add_f32_e32 v4, v95, v76
	v_sub_f32_e32 v48, v1, v0
	v_sub_f32_e32 v1, v2, v1
	;; [unrolled: 1-line block ×3, first 2 shown]
	v_add_f32_e32 v2, v27, v2
	v_fmamk_f32 v24, v24, 0x3d64c772, v7
	v_mul_f32_e32 v26, 0x3f4a47b2, v26
	v_mul_f32_e32 v27, 0x3d64c772, v32
	v_fma_f32 v49, 0x3f3bfb3b, v3, -v49
	v_fma_f32 v3, 0xbf3bfb3b, v3, -v7
	v_mul_f32_e32 v7, 0x3f08b237, v47
	v_add_f32_e32 v58, v58, v4
	v_fmamk_f32 v32, v32, 0x3d64c772, v26
	v_fma_f32 v27, 0x3f3bfb3b, v25, -v27
	v_fma_f32 v25, 0xbf3bfb3b, v25, -v26
	v_mul_f32_e32 v26, 0xbf5ff5aa, v16
	v_fma_f32 v16, 0xbf5ff5aa, v16, -v7
	v_mul_f32_e32 v47, 0x3f08b237, v48
	v_fmamk_f32 v91, v5, 0xbeae86e6, v7
	v_lshrrev_b32_e32 v7, 2, v66
	v_fma_f32 v26, 0x3eae86e6, v5, -v26
	v_mul_f32_e32 v5, 0xbf5ff5aa, v0
	v_fma_f32 v48, 0xbf5ff5aa, v0, -v47
	v_fmamk_f32 v0, v4, 0xbf955555, v58
	v_mul_lo_u32 v4, v7, 28
	v_add_f32_e32 v59, v59, v6
	v_fma_f32 v7, 0x3eae86e6, v1, -v5
	v_fmamk_f32 v47, v1, 0xbeae86e6, v47
	v_add_f32_e32 v24, v24, v0
	v_add_f32_e32 v5, v49, v0
	v_fmamk_f32 v6, v6, 0xbf955555, v59
	v_add_f32_e32 v49, v3, v0
	v_or_b32_e32 v0, v4, v90
	v_fmac_f32_e32 v16, 0xbee1c552, v17
	v_fmac_f32_e32 v48, 0xbee1c552, v2
	v_add_f32_e32 v27, v27, v6
	v_add_f32_e32 v32, v32, v6
	;; [unrolled: 1-line block ×3, first 2 shown]
	v_lshl_add_u32 v92, v0, 3, 0
	v_lshrrev_b32_e32 v6, 2, v74
	v_fmac_f32_e32 v7, 0xbee1c552, v2
	v_fmac_f32_e32 v47, 0xbee1c552, v2
	v_sub_f32_e32 v2, v5, v48
	v_add_f32_e32 v3, v16, v27
	v_add_f32_e32 v4, v48, v5
	v_sub_f32_e32 v5, v27, v16
	v_lshrrev_b32_e32 v16, 2, v73
	ds_write2_b64 v92, v[10:11], v[41:42] offset1:4
	v_mul_lo_u32 v11, v6, 28
	v_fmamk_f32 v111, v122, 0xbeae86e6, v120
	v_fmac_f32_e32 v91, 0xbee1c552, v17
	v_fmac_f32_e32 v26, 0xbee1c552, v17
	v_lshrrev_b32_e32 v17, 2, v72
	v_mul_lo_u32 v16, v16, 28
	v_fmac_f32_e32 v111, 0xbee1c552, v114
	v_add_f32_e32 v0, v7, v49
	v_sub_f32_e32 v1, v25, v26
	v_sub_f32_e32 v6, v49, v7
	v_add_f32_e32 v7, v26, v25
	v_or_b32_e32 v25, v11, v90
	v_mul_lo_u32 v17, v17, 28
	v_fmac_f32_e32 v110, 0xbee1c552, v114
	v_fmac_f32_e32 v103, 0xbee1c552, v104
	v_or_b32_e32 v16, v16, v90
	v_add_f32_e32 v22, v111, v28
	v_add_f32_e32 v10, v47, v24
	v_sub_f32_e32 v48, v24, v47
	v_lshl_add_u32 v24, v25, 3, 0
	v_sub_f32_e32 v8, v14, v110
	v_add_f32_e32 v9, v103, v15
	ds_write2_b64 v92, v[37:38], v[33:34] offset0:8 offset1:12
	ds_write2_b64 v92, v[35:36], v[39:40] offset0:16 offset1:20
	ds_write_b64 v92, v[43:44] offset:192
	ds_write2_b64 v24, v[12:13], v[22:23] offset1:4
	v_or_b32_e32 v12, v17, v90
	v_add_f32_e32 v14, v110, v14
	v_sub_f32_e32 v15, v15, v103
	v_sub_f32_e32 v76, v93, v78
	v_lshl_add_u32 v13, v16, 3, 0
	v_sub_f32_e32 v28, v28, v111
	v_add_f32_e32 v78, v78, v93
	v_sub_f32_e32 v11, v32, v91
	ds_write2_b64 v24, v[18:19], v[8:9] offset0:8 offset1:12
	ds_write2_b64 v24, v[14:15], v[20:21] offset0:16 offset1:20
	ds_write_b64 v24, v[28:29] offset:192
	v_lshl_add_u32 v8, v12, 3, 0
	v_add_f32_e32 v49, v91, v32
	ds_write2_b64 v13, v[30:31], v[75:76] offset1:4
	ds_write2_b64 v13, v[52:53], v[45:46] offset0:8 offset1:12
	ds_write2_b64 v13, v[50:51], v[54:55] offset0:16 offset1:20
	ds_write_b64 v13, v[77:78] offset:192
	ds_write2_b64 v8, v[58:59], v[10:11] offset1:4
	ds_write2_b64 v8, v[0:1], v[2:3] offset0:8 offset1:12
	ds_write2_b64 v8, v[4:5], v[6:7] offset0:16 offset1:20
	ds_write_b64 v8, v[48:49] offset:192
	v_lshl_add_u32 v110, v69, 3, 0
	v_add_nc_u32_e32 v0, 0xc00, v107
	v_lshl_add_u32 v109, v68, 3, 0
	v_lshl_add_u32 v111, v70, 3, 0
	v_add_nc_u32_e32 v1, 0x1400, v107
	s_waitcnt lgkmcnt(0)
	s_barrier
	buffer_gl0_inv
	ds_read_b64 v[50:51], v107
	ds_read_b64 v[52:53], v80
	ds_read_b32 v77, v107 offset:7844
	ds_read_b64 v[75:76], v107 offset:7840
	ds_read2_b64 v[32:35], v85 offset0:12 offset1:68
	ds_read2_b64 v[28:31], v85 offset0:124 offset1:180
	;; [unrolled: 1-line block ×3, first 2 shown]
	ds_read_b64 v[58:59], v108
	ds_read_b64 v[54:55], v83
	;; [unrolled: 1-line block ×5, first 2 shown]
	ds_read2_b64 v[40:43], v81 offset0:92 offset1:148
	ds_read_b64 v[105:106], v88
	ds_read_b64 v[103:104], v109
	ds_read2_b64 v[12:15], v0 offset0:120 offset1:176
	ds_read2_b64 v[36:39], v79 offset0:76 offset1:132
	;; [unrolled: 1-line block ×8, first 2 shown]
	s_and_saveexec_b32 s1, s0
	s_cbranch_execz .LBB0_17
; %bb.16:
	ds_read_b64 v[48:49], v107 offset:7616
	ds_read_b64 v[56:57], v107 offset:15456
.LBB0_17:
	s_or_b32 exec_lo, exec_lo, s1
	v_mov_b32_e32 v67, 0x4925
	s_waitcnt lgkmcnt(19)
	v_lshrrev_b16 v76, 2, v71
	v_lshrrev_b16 v78, 2, v70
	v_mov_b32_e32 v112, 3
	v_lshrrev_b16 v82, 2, v66
	v_lshrrev_b16 v86, 2, v73
	v_mul_u32_u24_sdwa v76, v76, v67 dst_sel:DWORD dst_unused:UNUSED_PAD src0_sel:WORD_0 src1_sel:DWORD
	v_mul_u32_u24_sdwa v78, v78, v67 dst_sel:DWORD dst_unused:UNUSED_PAD src0_sel:WORD_0 src1_sel:DWORD
	v_add_nc_u32_e32 v79, 0x1f8, v60
	v_and_b32_e32 v82, 63, v82
	v_lshrrev_b32_e32 v90, 17, v76
	v_lshrrev_b32_e32 v91, 17, v78
	v_lshrrev_b16 v115, 2, v79
	v_mul_lo_u16 v76, v90, 28
	v_mul_lo_u16 v78, v91, 28
	v_mul_u32_u24_sdwa v117, v115, v67 dst_sel:DWORD dst_unused:UNUSED_PAD src0_sel:WORD_0 src1_sel:DWORD
	v_sub_nc_u16 v76, v71, v76
	v_sub_nc_u16 v78, v70, v78
	v_lshrrev_b32_e32 v120, 17, v117
	v_lshlrev_b32_sdwa v92, v112, v76 dst_sel:DWORD dst_unused:UNUSED_PAD src0_sel:DWORD src1_sel:WORD_0
	v_lshrrev_b16 v76, 2, v69
	v_lshlrev_b32_sdwa v93, v112, v78 dst_sel:DWORD dst_unused:UNUSED_PAD src0_sel:DWORD src1_sel:WORD_0
	v_lshrrev_b16 v78, 2, v68
	s_clause 0x1
	global_load_dwordx2 v[84:85], v92, s[12:13] offset:192
	global_load_dwordx2 v[88:89], v93, s[12:13] offset:192
	v_mul_u32_u24_sdwa v76, v76, v67 dst_sel:DWORD dst_unused:UNUSED_PAD src0_sel:WORD_0 src1_sel:DWORD
	v_lshrrev_b32_e32 v94, 17, v76
	v_mul_u32_u24_sdwa v76, v78, v67 dst_sel:DWORD dst_unused:UNUSED_PAD src0_sel:WORD_0 src1_sel:DWORD
	v_mul_lo_u16 v78, v94, 28
	v_lshrrev_b32_e32 v95, 17, v76
	v_add_nc_u32_e32 v76, 0x230, v60
	v_sub_nc_u16 v78, v69, v78
	v_mul_lo_u16 v81, v95, 28
	v_lshlrev_b32_sdwa v113, v112, v78 dst_sel:DWORD dst_unused:UNUSED_PAD src0_sel:DWORD src1_sel:WORD_0
	v_lshrrev_b16 v78, 2, v74
	v_sub_nc_u16 v81, v68, v81
	global_load_dwordx2 v[130:131], v113, s[12:13] offset:192
	v_and_b32_e32 v78, 63, v78
	v_lshlrev_b32_sdwa v114, v112, v81 dst_sel:DWORD dst_unused:UNUSED_PAD src0_sel:DWORD src1_sel:WORD_0
	v_mul_lo_u16 v81, v82, 37
	v_lshrrev_b16 v82, 2, v72
	v_mul_lo_u16 v78, v78, 37
	global_load_dwordx2 v[132:133], v114, s[12:13] offset:192
	v_lshrrev_b16 v96, 8, v81
	v_and_b32_e32 v81, 63, v86
	v_mul_u32_u24_sdwa v82, v82, v67 dst_sel:DWORD dst_unused:UNUSED_PAD src0_sel:WORD_0 src1_sel:DWORD
	v_lshrrev_b16 v116, 8, v78
	v_lshrrev_b16 v78, 2, v76
	v_mul_lo_u16 v86, v96, 28
	v_mul_lo_u16 v81, v81, 37
	v_lshrrev_b32_e32 v124, 17, v82
	v_mul_lo_u16 v82, v116, 28
	v_mul_u32_u24_sdwa v78, v78, v67 dst_sel:DWORD dst_unused:UNUSED_PAD src0_sel:WORD_0 src1_sel:DWORD
	v_sub_nc_u16 v86, v66, v86
	v_lshrrev_b16 v123, 8, v81
	v_mul_lo_u16 v81, v124, 28
	v_sub_nc_u16 v82, v74, v82
	v_lshrrev_b32_e32 v121, 17, v78
	v_lshlrev_b32_sdwa v115, v112, v86 dst_sel:DWORD dst_unused:UNUSED_PAD src0_sel:DWORD src1_sel:BYTE_0
	v_mul_lo_u16 v86, v123, 28
	v_sub_nc_u16 v81, v72, v81
	v_lshlrev_b32_sdwa v118, v112, v82 dst_sel:DWORD dst_unused:UNUSED_PAD src0_sel:DWORD src1_sel:BYTE_0
	v_add_nc_u32_e32 v82, 0x268, v60
	global_load_dwordx2 v[134:135], v115, s[12:13] offset:192
	v_sub_nc_u16 v86, v73, v86
	v_mul_lo_u16 v78, v120, 28
	global_load_dwordx2 v[136:137], v118, s[12:13] offset:192
	v_lshlrev_b32_sdwa v127, v112, v81 dst_sel:DWORD dst_unused:UNUSED_PAD src0_sel:DWORD src1_sel:WORD_0
	v_mul_lo_u16 v81, v121, 28
	v_lshlrev_b32_sdwa v122, v112, v86 dst_sel:DWORD dst_unused:UNUSED_PAD src0_sel:DWORD src1_sel:BYTE_0
	v_sub_nc_u16 v78, v79, v78
	v_lshrrev_b16 v86, 2, v82
	global_load_dwordx2 v[138:139], v127, s[12:13] offset:192
	v_sub_nc_u16 v81, v76, v81
	global_load_dwordx2 v[140:141], v122, s[12:13] offset:192
	v_lshlrev_b32_sdwa v125, v112, v78 dst_sel:DWORD dst_unused:UNUSED_PAD src0_sel:DWORD src1_sel:WORD_0
	v_mul_u32_u24_sdwa v78, v86, v67 dst_sel:DWORD dst_unused:UNUSED_PAD src0_sel:WORD_0 src1_sel:DWORD
	v_add_nc_u32_e32 v86, 0x2a0, v60
	v_lshlrev_b32_sdwa v126, v112, v81 dst_sel:DWORD dst_unused:UNUSED_PAD src0_sel:DWORD src1_sel:WORD_0
	global_load_dwordx2 v[142:143], v125, s[12:13] offset:192
	v_lshrrev_b32_e32 v128, 17, v78
	global_load_dwordx2 v[144:145], v126, s[12:13] offset:192
	v_mul_lo_u16 v78, v128, 28
	v_sub_nc_u16 v78, v82, v78
	v_lshlrev_b32_sdwa v129, v112, v78 dst_sel:DWORD dst_unused:UNUSED_PAD src0_sel:DWORD src1_sel:WORD_0
	v_subrev_nc_u32_e32 v78, 28, v60
	global_load_dwordx2 v[146:147], v129, s[12:13] offset:192
	s_waitcnt vmcnt(10) lgkmcnt(16)
	v_mul_f32_e32 v117, v85, v45
	v_mul_f32_e32 v81, v85, v44
	s_waitcnt vmcnt(9)
	v_mul_f32_e32 v119, v89, v47
	v_add_nc_u32_e32 v85, 0x2d8, v60
	v_fmac_f32_e32 v117, v84, v44
	v_fma_f32 v44, v84, v45, -v81
	v_mul_f32_e32 v45, v89, v46
	v_fmac_f32_e32 v119, v88, v46
	v_mov_b32_e32 v89, 0
	v_add_nc_u32_e32 v84, 0x310, v60
	v_or_b32_e32 v81, 0x380, v60
	v_fma_f32 v45, v88, v47, -v45
	v_cndmask_b32_e64 v88, v78, v60, s0
	s_waitcnt vmcnt(8) lgkmcnt(10)
	v_mul_f32_e32 v46, v41, v131
	v_mul_f32_e32 v47, v40, v131
	v_fmac_f32_e32 v46, v40, v130
	v_fma_f32 v47, v41, v130, -v47
	s_waitcnt vmcnt(7)
	v_mul_f32_e32 v130, v43, v133
	v_mul_f32_e32 v40, v42, v133
	v_fmac_f32_e32 v130, v42, v132
	v_fma_f32 v42, v43, v132, -v40
	v_lshlrev_b64 v[40:41], 3, v[88:89]
	v_add_co_u32 v40, s1, s12, v40
	v_add_co_ci_u32_e64 v41, s1, s13, v41, s1
	v_cmp_lt_u32_e64 s1, 27, v60
	global_load_dwordx2 v[40:41], v[40:41], off offset:192
	s_waitcnt vmcnt(7)
	v_mul_f32_e32 v43, v135, v32
	v_mul_f32_e32 v131, v135, v33
	s_waitcnt vmcnt(6)
	v_mul_f32_e32 v78, v137, v34
	v_mul_f32_e32 v132, v137, v35
	v_fma_f32 v133, v134, v33, -v43
	v_fmac_f32_e32 v131, v134, v32
	v_fma_f32 v134, v136, v35, -v78
	s_waitcnt vmcnt(5)
	v_mul_f32_e32 v43, v139, v31
	v_mul_f32_e32 v32, v139, v30
	s_waitcnt vmcnt(4)
	v_mul_f32_e32 v135, v141, v29
	v_mul_f32_e32 v33, v141, v28
	v_add_nc_u32_e32 v78, 0x348, v60
	v_fmac_f32_e32 v43, v138, v30
	v_fmac_f32_e32 v132, v136, v34
	v_fmac_f32_e32 v135, v140, v28
	s_waitcnt vmcnt(3) lgkmcnt(6)
	v_mul_f32_e32 v35, v37, v143
	v_mul_f32_e32 v28, v36, v143
	v_fma_f32 v136, v140, v29, -v33
	s_waitcnt vmcnt(2)
	v_mul_f32_e32 v30, v38, v145
	v_lshrrev_b16 v29, 2, v86
	v_fmac_f32_e32 v35, v36, v142
	v_fma_f32 v36, v37, v142, -v28
	v_lshrrev_b16 v28, 2, v85
	v_fma_f32 v34, v138, v31, -v32
	v_lshrrev_b16 v31, 2, v84
	;; [unrolled: 2-line block ×3, first 2 shown]
	v_mul_f32_e32 v137, v39, v145
	v_mul_u32_u24_sdwa v29, v29, v67 dst_sel:DWORD dst_unused:UNUSED_PAD src0_sel:WORD_0 src1_sel:DWORD
	v_mul_u32_u24_sdwa v28, v28, v67 dst_sel:DWORD dst_unused:UNUSED_PAD src0_sel:WORD_0 src1_sel:DWORD
	v_mul_u32_u24_sdwa v31, v31, v67 dst_sel:DWORD dst_unused:UNUSED_PAD src0_sel:WORD_0 src1_sel:DWORD
	v_mul_u32_u24_sdwa v30, v30, v67 dst_sel:DWORD dst_unused:UNUSED_PAD src0_sel:WORD_0 src1_sel:DWORD
	v_fmac_f32_e32 v137, v38, v144
	v_lshrrev_b32_e32 v38, 17, v29
	v_lshrrev_b32_e32 v39, 17, v28
	v_lshrrev_b32_e32 v138, 17, v31
	v_lshrrev_b32_e32 v139, 17, v30
	s_waitcnt vmcnt(1) lgkmcnt(4)
	v_mul_f32_e32 v140, v25, v147
	v_mul_f32_e32 v28, v24, v147
	v_mul_lo_u16 v29, v38, 28
	v_mul_lo_u16 v30, v39, 28
	;; [unrolled: 1-line block ×3, first 2 shown]
	v_fmac_f32_e32 v140, v24, v146
	v_mul_lo_u16 v24, v139, 28
	v_fma_f32 v141, v25, v146, -v28
	v_sub_nc_u16 v25, v86, v29
	v_sub_nc_u16 v28, v85, v30
	;; [unrolled: 1-line block ×4, first 2 shown]
	v_lshlrev_b32_sdwa v142, v112, v25 dst_sel:DWORD dst_unused:UNUSED_PAD src0_sel:DWORD src1_sel:WORD_0
	v_lshlrev_b32_sdwa v143, v112, v28 dst_sel:DWORD dst_unused:UNUSED_PAD src0_sel:DWORD src1_sel:WORD_0
	;; [unrolled: 1-line block ×4, first 2 shown]
	s_clause 0x3
	global_load_dwordx2 v[24:25], v142, s[12:13] offset:192
	global_load_dwordx2 v[28:29], v143, s[12:13] offset:192
	;; [unrolled: 1-line block ×4, first 2 shown]
	s_waitcnt vmcnt(3)
	v_mul_f32_e32 v146, v27, v25
	v_mul_f32_e32 v25, v26, v25
	v_fmac_f32_e32 v146, v26, v24
	v_fma_f32 v24, v27, v24, -v25
	s_waitcnt vmcnt(2) lgkmcnt(2)
	v_mul_f32_e32 v25, v21, v29
	s_waitcnt vmcnt(1)
	v_mul_f32_e32 v27, v23, v31
	v_fmac_f32_e32 v25, v20, v28
	v_mul_f32_e32 v20, v20, v29
	s_waitcnt vmcnt(0) lgkmcnt(0)
	v_mul_f32_e32 v29, v17, v33
	v_fmac_f32_e32 v27, v22, v30
	v_fma_f32 v26, v21, v28, -v20
	v_mul_f32_e32 v20, v22, v31
	v_fmac_f32_e32 v29, v16, v32
	v_mul_f32_e32 v16, v16, v33
	v_sub_f32_e32 v21, v9, v141
	v_sub_f32_e32 v22, v10, v146
	v_fma_f32 v28, v23, v30, -v20
	v_sub_f32_e32 v20, v8, v140
	v_fma_f32 v30, v17, v32, -v16
	v_lshrrev_b16 v16, 2, v81
	v_sub_f32_e32 v23, v11, v24
	v_sub_f32_e32 v24, v0, v25
	;; [unrolled: 1-line block ×4, first 2 shown]
	v_mul_u32_u24_sdwa v16, v16, v67 dst_sel:DWORD dst_unused:UNUSED_PAD src0_sel:WORD_0 src1_sel:DWORD
	v_sub_f32_e32 v27, v3, v28
	v_sub_f32_e32 v28, v4, v29
	;; [unrolled: 1-line block ×3, first 2 shown]
	v_fma_f32 v8, v8, 2.0, -v20
	v_lshrrev_b32_e32 v32, 17, v16
	v_fma_f32 v9, v9, 2.0, -v21
	v_fma_f32 v10, v10, 2.0, -v22
	;; [unrolled: 1-line block ×4, first 2 shown]
	v_mul_lo_u16 v16, v32, 28
	v_mul_u32_u24_e32 v32, 0x1c0, v32
	v_fma_f32 v1, v1, 2.0, -v25
	v_fma_f32 v2, v2, 2.0, -v26
	;; [unrolled: 1-line block ×3, first 2 shown]
	v_sub_nc_u16 v16, v81, v16
	v_fma_f32 v4, v4, 2.0, -v28
	v_fma_f32 v5, v5, 2.0, -v29
	v_lshlrev_b32_sdwa v33, v112, v16 dst_sel:DWORD dst_unused:UNUSED_PAD src0_sel:DWORD src1_sel:WORD_0
	global_load_dwordx2 v[16:17], v33, s[12:13] offset:192
	v_add3_u32 v141, 0, v32, v33
	v_sub_f32_e32 v32, v99, v43
	v_sub_f32_e32 v33, v100, v34
	;; [unrolled: 1-line block ×3, first 2 shown]
	s_waitcnt vmcnt(0)
	s_barrier
	v_fma_f32 v99, v99, 2.0, -v32
	v_fma_f32 v100, v100, 2.0, -v33
	;; [unrolled: 1-line block ×3, first 2 shown]
	buffer_gl0_inv
	v_mul_f32_e32 v31, v19, v17
	v_mul_f32_e32 v17, v18, v17
	v_fmac_f32_e32 v31, v18, v16
	v_fma_f32 v147, v19, v16, -v17
	v_sub_f32_e32 v16, v12, v35
	v_sub_f32_e32 v18, v14, v137
	v_mul_f32_e32 v137, v77, v41
	v_mul_f32_e32 v35, v41, v75
	v_sub_f32_e32 v17, v13, v36
	v_lshlrev_b32_e32 v36, 3, v88
	v_sub_f32_e32 v19, v15, v37
	v_fmac_f32_e32 v137, v40, v75
	v_fma_f32 v75, v77, v40, -v35
	v_cndmask_b32_e64 v35, 0, 0x1c0, s1
	v_mul_u32_u24_e32 v37, 0x1c0, v90
	v_mul_u32_u24_e32 v40, 0x1c0, v91
	;; [unrolled: 1-line block ×3, first 2 shown]
	v_sub_f32_e32 v43, v51, v75
	v_add3_u32 v77, 0, v35, v36
	v_mov_b32_e32 v35, 0x1c0
	v_mul_u32_u24_e32 v36, 0x1c0, v124
	v_add3_u32 v124, 0, v40, v93
	v_mul_u32_u24_e32 v40, 0x1c0, v128
	v_add3_u32 v140, 0, v90, v114
	v_mul_u32_u24_sdwa v88, v116, v35 dst_sel:DWORD dst_unused:UNUSED_PAD src0_sel:WORD_0 src1_sel:DWORD
	v_add3_u32 v116, 0, v36, v127
	v_mul_u32_u24_e32 v36, 0x1c0, v94
	v_mul_u32_u24_sdwa v41, v96, v35 dst_sel:DWORD dst_unused:UNUSED_PAD src0_sel:WORD_0 src1_sel:DWORD
	v_mul_u32_u24_sdwa v35, v123, v35 dst_sel:DWORD dst_unused:UNUSED_PAD src0_sel:WORD_0 src1_sel:DWORD
	v_add3_u32 v123, 0, v37, v92
	v_mul_u32_u24_e32 v37, 0x1c0, v121
	v_add3_u32 v127, 0, v36, v113
	v_mul_u32_u24_e32 v36, 0x1c0, v120
	;; [unrolled: 2-line block ×3, first 2 shown]
	v_mul_u32_u24_e32 v38, 0x1c0, v139
	v_add3_u32 v120, 0, v41, v115
	v_add3_u32 v122, 0, v36, v125
	;; [unrolled: 1-line block ×3, first 2 shown]
	v_mul_u32_u24_e32 v37, 0x1c0, v138
	v_mul_u32_u24_e32 v36, 0x1c0, v39
	v_sub_f32_e32 v41, v104, v42
	v_sub_f32_e32 v42, v50, v137
	v_add3_u32 v128, 0, v35, v142
	v_add3_u32 v138, 0, v37, v144
	v_sub_f32_e32 v35, v106, v44
	v_sub_f32_e32 v37, v98, v45
	;; [unrolled: 1-line block ×4, first 2 shown]
	v_add3_u32 v139, 0, v38, v145
	v_sub_f32_e32 v38, v101, v46
	v_sub_f32_e32 v39, v102, v47
	;; [unrolled: 1-line block ×8, first 2 shown]
	v_lshlrev_b32_e32 v96, 2, v60
	v_lshlrev_b32_e32 v95, 2, v66
	;; [unrolled: 1-line block ×3, first 2 shown]
	v_add3_u32 v118, 0, v88, v118
	v_lshlrev_b32_e32 v93, 2, v73
	v_lshlrev_b32_e32 v92, 2, v72
	v_add3_u32 v126, 0, v40, v129
	v_lshlrev_b32_e32 v91, 2, v71
	v_add3_u32 v129, 0, v36, v143
	v_lshlrev_b32_e32 v90, 2, v70
	v_mul_i32_i24_e32 v113, 0xffffffe8, v71
	v_sub_f32_e32 v36, v97, v119
	v_sub_f32_e32 v40, v103, v130
	v_fma_f32 v50, v50, 2.0, -v42
	v_fma_f32 v51, v51, 2.0, -v43
	v_add_nc_u32_e32 v88, 0x3b8, v60
	v_fma_f32 v52, v52, 2.0, -v44
	v_fma_f32 v53, v53, 2.0, -v45
	;; [unrolled: 1-line block ×19, first 2 shown]
	ds_write2_b64 v77, v[50:51], v[42:43] offset1:28
	ds_write2_b64 v120, v[52:53], v[44:45] offset1:28
	;; [unrolled: 1-line block ×17, first 2 shown]
	s_and_saveexec_b32 s1, s0
	s_cbranch_execz .LBB0_19
; %bb.18:
	v_lshrrev_b16 v0, 2, v88
	v_mul_u32_u24_sdwa v0, v0, v67 dst_sel:DWORD dst_unused:UNUSED_PAD src0_sel:WORD_0 src1_sel:DWORD
	v_lshrrev_b32_e32 v0, 17, v0
	v_mul_lo_u16 v0, v0, 28
	v_sub_nc_u16 v0, v88, v0
	v_lshlrev_b32_sdwa v2, v112, v0 dst_sel:DWORD dst_unused:UNUSED_PAD src0_sel:DWORD src1_sel:WORD_0
	global_load_dwordx2 v[0:1], v2, s[12:13] offset:192
	s_waitcnt vmcnt(0)
	v_mul_f32_e32 v3, v56, v1
	v_mul_f32_e32 v4, v57, v1
	v_fma_f32 v1, v57, v0, -v3
	v_fmac_f32_e32 v4, v56, v0
	v_sub_f32_e32 v1, v49, v1
	v_sub_f32_e32 v0, v48, v4
	v_add_nc_u32_e32 v4, 0, v2
	v_fma_f32 v3, v49, 2.0, -v1
	v_fma_f32 v2, v48, 2.0, -v0
	v_add_nc_u32_e32 v4, 0x3800, v4
	ds_write2_b64 v4, v[2:3], v[0:1] offset0:112 offset1:140
.LBB0_19:
	s_or_b32 exec_lo, exec_lo, s1
	v_mul_u32_u24_e32 v0, 6, v60
	s_waitcnt lgkmcnt(0)
	s_barrier
	buffer_gl0_inv
	v_mov_b32_e32 v1, 0x2493
	v_lshlrev_b32_e32 v0, 3, v0
	v_add_nc_u32_e32 v67, 0x2000, v107
	v_add_nc_u32_e32 v100, 0x1800, v107
	;; [unrolled: 1-line block ×4, first 2 shown]
	s_clause 0x2
	global_load_dwordx4 v[40:43], v0, s[12:13] offset:432
	global_load_dwordx4 v[44:47], v0, s[12:13] offset:416
	;; [unrolled: 1-line block ×3, first 2 shown]
	v_lshrrev_b16 v0, 3, v72
	v_add_nc_u32_e32 v101, 0x3000, v107
	v_add_nc_u32_e32 v99, v61, v113
	;; [unrolled: 1-line block ×4, first 2 shown]
	v_mul_u32_u24_sdwa v0, v0, v1 dst_sel:DWORD dst_unused:UNUSED_PAD src0_sel:WORD_0 src1_sel:DWORD
	v_lshrrev_b16 v1, 3, v73
	v_add_nc_u32_e32 v136, 0x2400, v107
	v_add_nc_u32_e32 v61, 0x3800, v107
	s_add_u32 s4, s12, 0x3d20
	v_lshrrev_b32_e32 v0, 16, v0
	v_and_b32_e32 v1, 31, v1
	s_addc_u32 s5, s13, 0
	s_mov_b32 s6, exec_lo
	v_mul_lo_u16 v0, v0, 56
	v_mul_lo_u16 v1, v1, 37
	v_sub_nc_u16 v0, v72, v0
	v_lshrrev_b16 v1, 8, v1
	v_and_b32_e32 v102, 0xffff, v0
	v_mul_lo_u16 v1, v1, 56
	v_mul_u32_u24_e32 v0, 6, v102
	v_lshlrev_b32_e32 v0, 3, v0
	s_clause 0x2
	global_load_dwordx4 v[32:35], v0, s[12:13] offset:432
	global_load_dwordx4 v[28:31], v0, s[12:13] offset:448
	;; [unrolled: 1-line block ×3, first 2 shown]
	v_lshrrev_b16 v0, 3, v74
	v_and_b32_e32 v0, 31, v0
	v_mul_lo_u16 v0, v0, 37
	v_lshrrev_b16 v0, 8, v0
	v_mul_lo_u16 v0, v0, 56
	v_sub_nc_u16 v0, v74, v0
	v_and_b32_e32 v104, 0xff, v0
	v_sub_nc_u16 v0, v73, v1
	v_mul_u32_u24_e32 v1, 6, v104
	v_and_b32_e32 v103, 0xff, v0
	v_lshlrev_b32_e32 v0, 3, v1
	v_mul_u32_u24_e32 v1, 6, v103
	global_load_dwordx4 v[20:23], v0, s[12:13] offset:432
	v_lshlrev_b32_e32 v1, 3, v1
	s_clause 0x4
	global_load_dwordx4 v[16:19], v1, s[12:13] offset:432
	global_load_dwordx4 v[12:15], v0, s[12:13] offset:416
	;; [unrolled: 1-line block ×5, first 2 shown]
	ds_read2_b64 v[56:59], v67 offset0:96 offset1:152
	ds_read2_b64 v[52:55], v100 offset0:16 offset1:72
	;; [unrolled: 1-line block ×3, first 2 shown]
	ds_read_b64 v[97:98], v108
	ds_read_b64 v[144:145], v80
	ds_read2_b64 v[112:115], v77 offset0:48 offset1:104
	ds_read_b64 v[146:147], v107 offset:15232
	ds_read_b64 v[148:149], v107
	ds_read2_b64 v[116:119], v75 offset0:64 offset1:120
	ds_read2_b64 v[120:123], v101 offset0:144 offset1:200
	;; [unrolled: 1-line block ×5, first 2 shown]
	ds_read_b64 v[150:151], v99
	ds_read2_b64 v[136:139], v136 offset0:80 offset1:136
	ds_read2_b64 v[140:143], v101 offset0:32 offset1:88
	s_waitcnt vmcnt(11) lgkmcnt(15)
	v_mul_f32_e32 v106, v57, v43
	v_mul_f32_e32 v152, v56, v43
	;; [unrolled: 1-line block ×4, first 2 shown]
	s_waitcnt lgkmcnt(14)
	v_mul_f32_e32 v154, v55, v41
	v_mul_f32_e32 v155, v54, v41
	s_waitcnt lgkmcnt(13)
	v_mul_f32_e32 v156, v49, v41
	v_mul_f32_e32 v41, v48, v41
	s_waitcnt vmcnt(10) lgkmcnt(10)
	v_mul_f32_e32 v157, v47, v113
	v_mul_f32_e32 v158, v47, v112
	;; [unrolled: 1-line block ×3, first 2 shown]
	v_fmac_f32_e32 v106, v56, v42
	v_fma_f32 v152, v57, v42, -v152
	v_fmac_f32_e32 v153, v58, v42
	v_fma_f32 v58, v59, v42, -v43
	v_mul_f32_e32 v42, v114, v47
	v_fmac_f32_e32 v156, v48, v40
	v_fma_f32 v48, v49, v40, -v41
	s_waitcnt lgkmcnt(4)
	v_mul_f32_e32 v41, v128, v45
	s_waitcnt lgkmcnt(2)
	v_mul_f32_e32 v47, v45, v151
	v_fmac_f32_e32 v154, v54, v40
	v_fma_f32 v54, v55, v40, -v155
	v_mul_f32_e32 v40, v45, v150
	s_waitcnt vmcnt(9)
	v_mul_f32_e32 v49, v119, v37
	v_mul_f32_e32 v55, v129, v45
	v_fmac_f32_e32 v157, v46, v112
	v_fma_f32 v45, v46, v113, -v158
	v_fmac_f32_e32 v159, v114, v46
	v_fma_f32 v46, v115, v46, -v42
	v_mul_f32_e32 v42, v118, v37
	v_mul_f32_e32 v59, v121, v39
	;; [unrolled: 1-line block ×6, first 2 shown]
	v_fma_f32 v115, v129, v44, -v41
	v_mul_f32_e32 v41, v132, v37
	v_fmac_f32_e32 v47, v44, v150
	v_fma_f32 v113, v44, v151, -v40
	v_fmac_f32_e32 v55, v128, v44
	v_fmac_f32_e32 v59, v120, v38
	v_fma_f32 v120, v121, v38, -v43
	v_fmac_f32_e32 v112, v122, v38
	v_fma_f32 v121, v123, v38, -v39
	;; [unrolled: 2-line block ×4, first 2 shown]
	v_add_f32_e32 v150, v48, v58
	v_sub_f32_e32 v48, v58, v48
	s_waitcnt vmcnt(8)
	v_mul_f32_e32 v58, v127, v33
	v_mul_f32_e32 v33, v126, v33
	v_add_f32_e32 v119, v47, v59
	v_add_f32_e32 v122, v113, v120
	v_sub_f32_e32 v47, v47, v59
	v_sub_f32_e32 v59, v113, v120
	v_add_f32_e32 v113, v157, v49
	v_add_f32_e32 v120, v45, v118
	v_sub_f32_e32 v45, v45, v118
	v_add_f32_e32 v118, v154, v106
	v_add_f32_e32 v123, v54, v152
	;; [unrolled: 1-line block ×3, first 2 shown]
	v_sub_f32_e32 v55, v55, v112
	v_add_f32_e32 v112, v115, v121
	v_sub_f32_e32 v115, v115, v121
	v_add_f32_e32 v121, v159, v114
	v_add_f32_e32 v129, v46, v36
	v_mul_f32_e32 v133, v117, v35
	v_mul_f32_e32 v35, v116, v35
	v_fmac_f32_e32 v58, v126, v32
	v_fma_f32 v126, v127, v32, -v33
	s_waitcnt vmcnt(7)
	v_mul_f32_e32 v127, v147, v31
	v_mul_f32_e32 v31, v146, v31
	ds_read2_b64 v[41:44], v105 offset0:192 offset1:248
	v_sub_f32_e32 v49, v157, v49
	v_sub_f32_e32 v106, v106, v154
	;; [unrolled: 1-line block ×3, first 2 shown]
	v_add_f32_e32 v46, v156, v153
	v_fmac_f32_e32 v133, v116, v34
	v_fma_f32 v116, v117, v34, -v35
	v_add_f32_e32 v34, v113, v119
	v_add_f32_e32 v35, v120, v122
	v_sub_f32_e32 v117, v113, v119
	v_sub_f32_e32 v32, v120, v122
	;; [unrolled: 1-line block ×4, first 2 shown]
	s_waitcnt lgkmcnt(1)
	v_mul_f32_e32 v122, v143, v29
	v_fmac_f32_e32 v127, v146, v30
	v_fma_f32 v146, v147, v30, -v31
	v_mul_f32_e32 v29, v142, v29
	s_waitcnt vmcnt(6)
	v_mul_f32_e32 v147, v53, v27
	v_mul_f32_e32 v27, v52, v27
	v_add_f32_e32 v30, v121, v128
	v_add_f32_e32 v31, v129, v112
	v_sub_f32_e32 v54, v152, v54
	v_sub_f32_e32 v114, v159, v114
	;; [unrolled: 1-line block ×5, first 2 shown]
	v_fmac_f32_e32 v122, v142, v28
	v_fma_f32 v142, v143, v28, -v29
	v_add_f32_e32 v28, v106, v49
	v_sub_f32_e32 v143, v106, v49
	v_fma_f32 v151, v53, v26, -v27
	v_sub_f32_e32 v27, v47, v106
	v_sub_f32_e32 v49, v49, v47
	;; [unrolled: 1-line block ×3, first 2 shown]
	v_add_f32_e32 v34, v118, v34
	v_sub_f32_e32 v106, v128, v46
	v_sub_f32_e32 v118, v46, v121
	v_add_f32_e32 v46, v46, v30
	v_add_f32_e32 v30, v48, v36
	v_add_f32_e32 v128, v150, v31
	v_add_f32_e32 v29, v54, v45
	v_fmac_f32_e32 v147, v52, v26
	v_sub_f32_e32 v26, v54, v45
	v_sub_f32_e32 v52, v59, v54
	;; [unrolled: 1-line block ×5, first 2 shown]
	v_add_f32_e32 v35, v123, v35
	v_add_f32_e32 v123, v132, v114
	v_sub_f32_e32 v129, v132, v114
	v_sub_f32_e32 v150, v48, v36
	v_sub_f32_e32 v48, v115, v48
	v_sub_f32_e32 v36, v36, v115
	v_mul_f32_e32 v119, 0x3f4a47b2, v119
	v_add_f32_e32 v115, v30, v115
	v_add_f32_e32 v30, v144, v46
	v_add_f32_e32 v31, v145, v128
	v_mul_f32_e32 v144, 0x3d64c772, v120
	v_mul_f32_e32 v143, 0x3f08b237, v143
	;; [unrolled: 1-line block ×3, first 2 shown]
	v_sub_f32_e32 v45, v45, v59
	v_sub_f32_e32 v132, v55, v132
	;; [unrolled: 1-line block ×3, first 2 shown]
	v_mul_f32_e32 v33, 0x3f4a47b2, v33
	v_add_f32_e32 v55, v123, v55
	v_mul_f32_e32 v123, 0x3d64c772, v113
	v_mul_f32_e32 v26, 0x3f08b237, v26
	;; [unrolled: 1-line block ×4, first 2 shown]
	v_fmamk_f32 v120, v120, 0x3d64c772, v119
	v_fma_f32 v144, 0x3f3bfb3b, v32, -v144
	v_fma_f32 v119, 0xbf3bfb3b, v32, -v119
	v_mul_f32_e32 v32, 0x3d64c772, v118
	v_fma_f32 v49, 0xbf5ff5aa, v49, -v143
	v_fmamk_f32 v143, v27, 0xbeae86e6, v143
	v_fma_f32 v145, 0x3eae86e6, v27, -v145
	v_mul_f32_e32 v27, 0x3d64c772, v121
	v_mul_f32_e32 v129, 0x3f08b237, v129
	v_add_f32_e32 v47, v28, v47
	v_add_f32_e32 v59, v29, v59
	;; [unrolled: 1-line block ×4, first 2 shown]
	v_fmamk_f32 v113, v113, 0x3d64c772, v33
	v_fma_f32 v123, 0x3f3bfb3b, v117, -v123
	v_fma_f32 v117, 0xbf3bfb3b, v117, -v33
	v_mul_f32_e32 v33, 0xbf5ff5aa, v45
	v_mul_f32_e32 v148, 0x3f08b237, v150
	v_fma_f32 v45, 0xbf5ff5aa, v45, -v26
	v_fmamk_f32 v149, v52, 0xbeae86e6, v26
	v_mul_f32_e32 v26, 0xbf5ff5aa, v114
	v_fmamk_f32 v118, v118, 0x3d64c772, v106
	v_fma_f32 v150, 0x3f3bfb3b, v53, -v32
	v_fma_f32 v53, 0xbf3bfb3b, v53, -v106
	v_fmamk_f32 v106, v121, 0x3d64c772, v112
	v_fma_f32 v121, 0x3f3bfb3b, v54, -v27
	v_fma_f32 v54, 0xbf3bfb3b, v54, -v112
	;; [unrolled: 1-line block ×3, first 2 shown]
	s_waitcnt lgkmcnt(0)
	v_mul_f32_e32 v114, v44, v25
	v_mul_f32_e32 v25, v43, v25
	ds_read2_b64 v[37:40], v77 offset0:160 offset1:216
	v_fmamk_f32 v129, v132, 0xbeae86e6, v129
	v_fma_f32 v132, 0x3eae86e6, v132, -v26
	v_fmac_f32_e32 v114, v43, v24
	v_fma_f32 v152, v44, v24, -v25
	ds_read2_b64 v[24:27], v61 offset1:56
	v_mul_f32_e32 v32, 0xbf5ff5aa, v36
	v_fmamk_f32 v43, v48, 0xbeae86e6, v148
	v_fma_f32 v52, 0x3eae86e6, v52, -v33
	v_fma_f32 v36, 0xbf5ff5aa, v36, -v148
	v_fmac_f32_e32 v129, 0xbee1c552, v55
	v_fma_f32 v44, 0x3eae86e6, v48, -v32
	s_waitcnt vmcnt(5)
	v_mul_f32_e32 v48, v51, v21
	v_mul_f32_e32 v21, v50, v21
	v_fmac_f32_e32 v112, 0xbee1c552, v55
	v_fmac_f32_e32 v132, 0xbee1c552, v55
	v_mul_f32_e32 v55, v137, v23
	v_fmac_f32_e32 v48, v50, v20
	v_fma_f32 v50, v51, v20, -v21
	v_mul_f32_e32 v20, v136, v23
	s_waitcnt vmcnt(4)
	v_mul_f32_e32 v51, v139, v19
	v_mul_f32_e32 v19, v138, v19
	v_fmac_f32_e32 v143, 0xbee1c552, v47
	v_fmac_f32_e32 v49, 0xbee1c552, v47
	;; [unrolled: 1-line block ×6, first 2 shown]
	v_fmamk_f32 v34, v34, 0xbf955555, v28
	v_fmamk_f32 v35, v35, 0xbf955555, v29
	v_fmamk_f32 v46, v46, 0xbf955555, v30
	v_fmamk_f32 v47, v128, 0xbf955555, v31
	v_fmac_f32_e32 v43, 0xbee1c552, v115
	v_fmac_f32_e32 v36, 0xbee1c552, v115
	;; [unrolled: 1-line block ×3, first 2 shown]
	v_mul_f32_e32 v59, v125, v17
	v_fmac_f32_e32 v55, v136, v22
	v_fma_f32 v115, v137, v22, -v20
	v_mul_f32_e32 v17, v124, v17
	s_waitcnt vmcnt(3)
	v_mul_f32_e32 v128, v131, v13
	v_mul_f32_e32 v13, v130, v13
	s_waitcnt lgkmcnt(1)
	v_mul_f32_e32 v136, v38, v15
	v_fmac_f32_e32 v51, v138, v18
	v_fma_f32 v137, v139, v18, -v19
	v_mul_f32_e32 v15, v37, v15
	s_waitcnt vmcnt(2)
	v_mul_f32_e32 v138, v135, v9
	v_mul_f32_e32 v9, v134, v9
	s_waitcnt lgkmcnt(0)
	v_mul_f32_e32 v139, v25, v11
	v_mul_f32_e32 v11, v24, v11
	v_fmac_f32_e32 v59, v124, v16
	v_fma_f32 v124, v125, v16, -v17
	s_waitcnt vmcnt(1)
	v_mul_f32_e32 v125, v40, v7
	v_mul_f32_e32 v7, v39, v7
	;; [unrolled: 1-line block ×4, first 2 shown]
	v_add_f32_e32 v16, v113, v34
	v_add_f32_e32 v17, v123, v34
	;; [unrolled: 1-line block ×3, first 2 shown]
	s_waitcnt vmcnt(0)
	v_mul_f32_e32 v113, v141, v1
	v_add_f32_e32 v19, v120, v35
	v_add_f32_e32 v20, v144, v35
	v_add_f32_e32 v21, v119, v35
	v_mul_f32_e32 v1, v140, v1
	v_add_f32_e32 v22, v118, v46
	v_add_f32_e32 v23, v150, v46
	v_add_f32_e32 v34, v53, v46
	;; [unrolled: 4-line block ×3, first 2 shown]
	v_mul_f32_e32 v3, v26, v3
	v_fmac_f32_e32 v128, v130, v12
	v_fma_f32 v54, v131, v12, -v13
	v_fmac_f32_e32 v136, v37, v14
	v_fma_f32 v37, v38, v14, -v15
	;; [unrolled: 2-line block ×4, first 2 shown]
	v_fma_f32 v106, v40, v6, -v7
	v_fma_f32 v117, v42, v4, -v5
	v_fmac_f32_e32 v113, v140, v0
	v_fma_f32 v118, v141, v0, -v1
	v_fmac_f32_e32 v46, v26, v2
	v_fma_f32 v119, v27, v2, -v3
	v_add_f32_e32 v0, v149, v16
	v_add_f32_e32 v2, v52, v18
	;; [unrolled: 1-line block ×3, first 2 shown]
	v_sub_f32_e32 v7, v20, v49
	v_sub_f32_e32 v8, v18, v52
	;; [unrolled: 1-line block ×4, first 2 shown]
	v_add_f32_e32 v14, v44, v34
	v_sub_f32_e32 v16, v23, v36
	v_add_f32_e32 v18, v36, v23
	v_sub_f32_e32 v20, v34, v44
	v_add_f32_e32 v23, v129, v35
	v_add_f32_e32 v25, v128, v139
	;; [unrolled: 1-line block ×5, first 2 shown]
	v_fmac_f32_e32 v125, v39, v6
	v_fmac_f32_e32 v148, v41, v4
	v_add_f32_e32 v12, v43, v22
	v_sub_f32_e32 v22, v22, v43
	v_sub_f32_e32 v27, v128, v139
	;; [unrolled: 1-line block ×5, first 2 shown]
	v_add_f32_e32 v38, v48, v55
	v_add_f32_e32 v39, v50, v115
	v_sub_f32_e32 v40, v55, v48
	v_sub_f32_e32 v41, v115, v50
	v_add_f32_e32 v42, v34, v25
	v_add_f32_e32 v43, v35, v26
	v_sub_f32_e32 v3, v21, v145
	v_sub_f32_e32 v4, v17, v45
	v_add_f32_e32 v6, v45, v17
	v_add_f32_e32 v9, v145, v21
	v_sub_f32_e32 v15, v47, v132
	v_add_f32_e32 v21, v132, v47
	v_sub_f32_e32 v44, v34, v25
	v_sub_f32_e32 v45, v35, v26
	;; [unrolled: 1-line block ×6, first 2 shown]
	v_add_f32_e32 v47, v40, v36
	v_add_f32_e32 v48, v41, v37
	v_sub_f32_e32 v49, v40, v36
	v_sub_f32_e32 v50, v41, v37
	;; [unrolled: 1-line block ×4, first 2 shown]
	v_add_f32_e32 v38, v38, v42
	v_add_f32_e32 v39, v39, v43
	v_sub_f32_e32 v1, v19, v143
	v_add_f32_e32 v11, v143, v19
	v_add_f32_e32 v17, v112, v53
	v_sub_f32_e32 v19, v53, v112
	v_sub_f32_e32 v40, v27, v40
	;; [unrolled: 1-line block ×3, first 2 shown]
	v_add_f32_e32 v27, v47, v27
	v_add_f32_e32 v42, v48, v24
	v_mul_f32_e32 v43, 0x3f4a47b2, v25
	v_mul_f32_e32 v26, 0x3f4a47b2, v26
	v_add_f32_e32 v24, v97, v38
	v_add_f32_e32 v25, v98, v39
	v_mul_f32_e32 v47, 0x3d64c772, v34
	v_mul_f32_e32 v48, 0x3d64c772, v35
	;; [unrolled: 1-line block ×6, first 2 shown]
	v_fmamk_f32 v38, v38, 0xbf955555, v24
	v_fmamk_f32 v39, v39, 0xbf955555, v25
	;; [unrolled: 1-line block ×4, first 2 shown]
	v_fma_f32 v47, 0x3f3bfb3b, v44, -v47
	v_fma_f32 v48, 0x3f3bfb3b, v45, -v48
	v_fma_f32 v43, 0xbf3bfb3b, v44, -v43
	v_fma_f32 v26, 0xbf3bfb3b, v45, -v26
	v_fmamk_f32 v44, v40, 0xbeae86e6, v49
	v_fmamk_f32 v45, v41, 0xbeae86e6, v50
	v_fma_f32 v49, 0xbf5ff5aa, v36, -v49
	v_fma_f32 v50, 0xbf5ff5aa, v37, -v50
	;; [unrolled: 1-line block ×4, first 2 shown]
	ds_read_b64 v[56:57], v87
	ds_read_b64 v[32:33], v83
	v_add_f32_e32 v53, v34, v38
	v_add_f32_e32 v54, v35, v39
	;; [unrolled: 1-line block ×6, first 2 shown]
	v_fmac_f32_e32 v44, 0xbee1c552, v27
	v_fmac_f32_e32 v45, 0xbee1c552, v42
	;; [unrolled: 1-line block ×6, first 2 shown]
	v_add_f32_e32 v26, v45, v53
	v_sub_f32_e32 v27, v54, v44
	v_add_f32_e32 v34, v40, v43
	v_sub_f32_e32 v35, v48, v52
	v_sub_f32_e32 v36, v41, v50
	v_add_f32_e32 v37, v49, v47
	v_add_f32_e32 v38, v50, v41
	v_sub_f32_e32 v39, v47, v49
	v_sub_f32_e32 v40, v43, v40
	v_add_f32_e32 v41, v52, v48
	v_sub_f32_e32 v42, v53, v45
	v_add_f32_e32 v43, v44, v54
	v_add_f32_e32 v44, v148, v46
	;; [unrolled: 1-line block ×5, first 2 shown]
	v_sub_f32_e32 v46, v148, v46
	v_sub_f32_e32 v47, v117, v119
	;; [unrolled: 1-line block ×4, first 2 shown]
	v_add_f32_e32 v53, v59, v51
	v_add_f32_e32 v54, v124, v137
	v_sub_f32_e32 v51, v51, v59
	v_sub_f32_e32 v55, v137, v124
	v_add_f32_e32 v59, v48, v44
	v_add_f32_e32 v97, v49, v45
	v_sub_f32_e32 v98, v48, v44
	v_sub_f32_e32 v106, v49, v45
	;; [unrolled: 1-line block ×6, first 2 shown]
	v_add_f32_e32 v112, v51, v50
	v_add_f32_e32 v113, v55, v52
	v_sub_f32_e32 v115, v51, v50
	v_sub_f32_e32 v117, v55, v52
	v_sub_f32_e32 v50, v50, v46
	v_add_f32_e32 v53, v53, v59
	v_add_f32_e32 v54, v54, v97
	v_sub_f32_e32 v52, v52, v47
	v_sub_f32_e32 v51, v46, v51
	;; [unrolled: 1-line block ×3, first 2 shown]
	v_add_f32_e32 v46, v112, v46
	v_add_f32_e32 v47, v113, v47
	s_waitcnt lgkmcnt(0)
	v_add_f32_e32 v32, v32, v53
	v_add_f32_e32 v33, v33, v54
	v_mul_f32_e32 v44, 0x3f4a47b2, v44
	v_mul_f32_e32 v45, 0x3f4a47b2, v45
	;; [unrolled: 1-line block ×8, first 2 shown]
	v_fmamk_f32 v53, v53, 0xbf955555, v32
	v_fmamk_f32 v54, v54, 0xbf955555, v33
	;; [unrolled: 1-line block ×4, first 2 shown]
	v_fma_f32 v59, 0x3f3bfb3b, v98, -v59
	v_fma_f32 v97, 0x3f3bfb3b, v106, -v97
	;; [unrolled: 1-line block ×4, first 2 shown]
	v_fmamk_f32 v98, v51, 0xbeae86e6, v112
	v_fmamk_f32 v106, v55, 0xbeae86e6, v113
	v_fma_f32 v112, 0xbf5ff5aa, v50, -v112
	v_fma_f32 v50, 0xbf5ff5aa, v52, -v113
	;; [unrolled: 1-line block ×4, first 2 shown]
	v_add_f32_e32 v55, v48, v53
	v_add_f32_e32 v115, v49, v54
	;; [unrolled: 1-line block ×6, first 2 shown]
	v_fmac_f32_e32 v112, 0xbee1c552, v46
	v_fmac_f32_e32 v52, 0xbee1c552, v47
	;; [unrolled: 1-line block ×6, first 2 shown]
	v_add_f32_e32 v46, v52, v53
	v_sub_f32_e32 v47, v54, v113
	v_sub_f32_e32 v48, v51, v50
	v_add_f32_e32 v49, v112, v59
	v_add_f32_e32 v50, v50, v51
	v_sub_f32_e32 v51, v59, v112
	v_sub_f32_e32 v52, v53, v52
	v_add_f32_e32 v53, v113, v54
	v_add_f32_e32 v59, v114, v127
	;; [unrolled: 1-line block ×6, first 2 shown]
	v_sub_f32_e32 v45, v115, v98
	v_sub_f32_e32 v54, v55, v106
	v_add_f32_e32 v55, v98, v115
	v_sub_f32_e32 v98, v114, v127
	v_sub_f32_e32 v114, v147, v122
	v_add_f32_e32 v117, v58, v133
	v_add_f32_e32 v118, v126, v116
	v_sub_f32_e32 v58, v133, v58
	v_add_f32_e32 v119, v112, v59
	v_add_f32_e32 v120, v113, v97
	v_sub_f32_e32 v106, v152, v146
	v_sub_f32_e32 v115, v151, v142
	;; [unrolled: 1-line block ×9, first 2 shown]
	v_add_f32_e32 v123, v58, v114
	v_sub_f32_e32 v125, v58, v114
	v_sub_f32_e32 v114, v114, v98
	v_add_f32_e32 v117, v117, v119
	v_add_f32_e32 v118, v118, v120
	;; [unrolled: 1-line block ×3, first 2 shown]
	v_sub_f32_e32 v126, v116, v115
	v_sub_f32_e32 v58, v98, v58
	;; [unrolled: 1-line block ×3, first 2 shown]
	v_add_f32_e32 v98, v123, v98
	v_add_f32_e32 v56, v56, v117
	;; [unrolled: 1-line block ×3, first 2 shown]
	v_mul_f32_e32 v59, 0x3f4a47b2, v59
	v_mul_f32_e32 v97, 0x3f4a47b2, v97
	v_mul_f32_e32 v119, 0x3d64c772, v112
	v_mul_f32_e32 v120, 0x3d64c772, v113
	v_mul_f32_e32 v123, 0x3f08b237, v125
	v_mul_f32_e32 v125, 0xbf5ff5aa, v114
	v_sub_f32_e32 v116, v106, v116
	v_add_f32_e32 v106, v124, v106
	v_mul_f32_e32 v124, 0x3f08b237, v126
	v_mul_f32_e32 v126, 0xbf5ff5aa, v115
	v_fmamk_f32 v117, v117, 0xbf955555, v56
	v_fmamk_f32 v118, v118, 0xbf955555, v57
	;; [unrolled: 1-line block ×4, first 2 shown]
	v_fma_f32 v119, 0x3f3bfb3b, v121, -v119
	v_fma_f32 v120, 0x3f3bfb3b, v122, -v120
	;; [unrolled: 1-line block ×4, first 2 shown]
	v_fmamk_f32 v121, v58, 0xbeae86e6, v123
	v_fma_f32 v123, 0xbf5ff5aa, v114, -v123
	v_fma_f32 v125, 0x3eae86e6, v58, -v125
	v_fmamk_f32 v122, v116, 0xbeae86e6, v124
	v_fma_f32 v126, 0x3eae86e6, v116, -v126
	v_add_f32_e32 v116, v119, v117
	v_add_f32_e32 v119, v120, v118
	;; [unrolled: 1-line block ×3, first 2 shown]
	v_fmac_f32_e32 v123, 0xbee1c552, v98
	v_fmac_f32_e32 v125, 0xbee1c552, v98
	s_barrier
	buffer_gl0_inv
	ds_write2_b64 v107, v[28:29], v[0:1] offset1:56
	ds_write2_b64 v107, v[2:3], v[4:5] offset0:112 offset1:168
	v_lshl_add_u32 v0, v104, 3, 0
	v_fma_f32 v124, 0xbf5ff5aa, v115, -v124
	v_add_f32_e32 v127, v112, v117
	v_add_f32_e32 v128, v113, v118
	;; [unrolled: 1-line block ×3, first 2 shown]
	v_sub_f32_e32 v113, v97, v125
	v_add_f32_e32 v115, v123, v119
	v_sub_f32_e32 v117, v119, v123
	v_add_f32_e32 v119, v125, v97
	v_add_nc_u32_e32 v97, 0x400, v107
	v_lshl_add_u32 v2, v103, 3, 0
	v_add_nc_u32_e32 v1, 0x1800, v0
	v_fmac_f32_e32 v121, 0xbee1c552, v98
	v_add_nc_u32_e32 v98, 0xc00, v107
	v_add_nc_u32_e32 v3, 0x1c00, v0
	ds_write2_b64 v97, v[6:7], v[8:9] offset0:96 offset1:152
	ds_write2_b64 v105, v[10:11], v[30:31] offset0:80 offset1:136
	ds_write_b64 v109, v[12:13]
	ds_write2_b64 v98, v[14:15], v[16:17] offset0:120 offset1:176
	v_mov_b32_e32 v97, v89
	ds_write2_b64 v77, v[18:19], v[20:21] offset0:104 offset1:160
	ds_write_b64 v107, v[22:23] offset:5824
	ds_write2_b64 v1, v[24:25], v[26:27] offset0:16 offset1:72
	ds_write2_b64 v1, v[34:35], v[36:37] offset0:128 offset1:184
	v_add_nc_u32_e32 v1, 0x2000, v2
	v_fmac_f32_e32 v122, 0xbee1c552, v106
	v_lshl_add_u32 v4, v102, 3, 0
	v_fmac_f32_e32 v126, 0xbee1c552, v106
	v_fmac_f32_e32 v124, 0xbee1c552, v106
	ds_write2_b64 v3, v[38:39], v[40:41] offset0:112 offset1:168
	v_add_nc_u32_e32 v3, 0x2800, v2
	ds_write_b64 v0, v[42:43] offset:8960
	ds_write2_b64 v1, v[32:33], v[44:45] offset0:152 offset1:208
	v_lshlrev_b64 v[0:1], 3, v[96:97]
	v_add_f32_e32 v58, v122, v127
	v_sub_f32_e32 v59, v128, v121
	v_add_nc_u32_e32 v5, 0x3000, v4
	v_add_f32_e32 v112, v126, v120
	v_sub_f32_e32 v114, v116, v124
	v_add_f32_e32 v116, v124, v116
	v_sub_f32_e32 v118, v120, v126
	ds_write2_b64 v3, v[46:47], v[48:49] offset0:8 offset1:64
	ds_write2_b64 v3, v[50:51], v[52:53] offset0:120 offset1:176
	v_add_nc_u32_e32 v3, 0x3800, v4
	ds_write_b64 v2, v[54:55] offset:12096
	ds_write2_b64 v5, v[56:57], v[58:59] offset0:32 offset1:88
	ds_write2_b64 v5, v[112:113], v[114:115] offset0:144 offset1:200
	ds_write2_b64 v3, v[116:117], v[118:119] offset1:56
	v_add_co_u32 v2, s1, s12, v0
	v_add_co_ci_u32_e64 v3, s1, s13, v1, s1
	v_sub_f32_e32 v120, v127, v122
	v_add_co_u32 v0, s1, 0x800, v2
	v_add_co_ci_u32_e64 v1, s1, 0, v3, s1
	v_add_co_u32 v2, s1, 0xc20, v2
	v_add_f32_e32 v121, v121, v128
	v_mov_b32_e32 v96, v89
	v_add_co_ci_u32_e64 v3, s1, 0, v3, s1
	ds_write_b64 v4, v[120:121] offset:15232
	s_waitcnt lgkmcnt(0)
	s_barrier
	buffer_gl0_inv
	s_clause 0x1
	global_load_dwordx4 v[4:7], v[0:1], off offset:1056
	global_load_dwordx4 v[8:11], v[2:3], off offset:16
	v_lshlrev_b64 v[0:1], 3, v[95:96]
	v_mov_b32_e32 v95, v89
	v_add_co_u32 v12, s1, s12, v0
	v_add_co_ci_u32_e64 v13, s1, s13, v1, s1
	v_lshlrev_b64 v[20:21], 3, v[94:95]
	v_add_co_u32 v0, s1, 0x800, v12
	v_add_co_ci_u32_e64 v1, s1, 0, v13, s1
	v_add_co_u32 v2, s1, 0xc20, v12
	v_add_co_ci_u32_e64 v3, s1, 0, v13, s1
	;; [unrolled: 2-line block ×3, first 2 shown]
	v_mov_b32_e32 v94, v89
	s_clause 0x1
	global_load_dwordx4 v[12:15], v[0:1], off offset:1056
	global_load_dwordx4 v[16:19], v[2:3], off offset:16
	v_add_co_u32 v0, s1, 0x800, v24
	v_add_co_ci_u32_e64 v1, s1, 0, v25, s1
	v_lshlrev_b64 v[2:3], 3, v[93:94]
	v_mov_b32_e32 v93, v89
	global_load_dwordx4 v[20:23], v[0:1], off offset:1056
	v_add_co_u32 v0, s1, 0xc20, v24
	v_add_co_ci_u32_e64 v1, s1, 0, v25, s1
	v_add_co_u32 v2, s1, s12, v2
	v_add_co_ci_u32_e64 v3, s1, s13, v3, s1
	global_load_dwordx4 v[24:27], v[0:1], off offset:16
	v_add_co_u32 v0, s1, 0x800, v2
	v_lshlrev_b64 v[36:37], 3, v[92:93]
	v_add_co_ci_u32_e64 v1, s1, 0, v3, s1
	v_add_co_u32 v2, s1, 0xc20, v2
	v_add_co_ci_u32_e64 v3, s1, 0, v3, s1
	v_add_co_u32 v36, s1, s12, v36
	v_mov_b32_e32 v92, v89
	v_add_co_ci_u32_e64 v37, s1, s13, v37, s1
	s_clause 0x1
	global_load_dwordx4 v[28:31], v[0:1], off offset:1056
	global_load_dwordx4 v[32:35], v[2:3], off offset:16
	v_add_co_u32 v0, s1, 0x800, v36
	v_lshlrev_b64 v[2:3], 3, v[91:92]
	v_add_co_ci_u32_e64 v1, s1, 0, v37, s1
	v_add_co_u32 v40, s1, 0xc20, v36
	v_add_co_ci_u32_e64 v41, s1, 0, v37, s1
	v_add_co_u32 v2, s1, s12, v2
	v_add_co_ci_u32_e64 v3, s1, s13, v3, s1
	s_clause 0x1
	global_load_dwordx4 v[36:39], v[0:1], off offset:1056
	global_load_dwordx4 v[40:43], v[40:41], off offset:16
	v_add_co_u32 v0, s1, 0x800, v2
	v_add_co_ci_u32_e64 v1, s1, 0, v3, s1
	v_mov_b32_e32 v91, v89
	v_add_co_u32 v2, s1, 0xc20, v2
	global_load_dwordx4 v[45:48], v[0:1], off offset:1056
	v_add_co_ci_u32_e64 v3, s1, 0, v3, s1
	v_lshlrev_b64 v[0:1], 3, v[90:91]
	ds_read_b64 v[57:58], v110
	global_load_dwordx4 v[89:92], v[2:3], off offset:16
	v_add_co_u32 v44, s1, s12, v0
	v_add_co_ci_u32_e64 v49, s1, s13, v1, s1
	v_add_co_u32 v0, s1, 0x800, v44
	v_add_co_ci_u32_e64 v1, s1, 0, v49, s1
	global_load_dwordx4 v[93:96], v[0:1], off offset:1056
	v_add_co_u32 v0, s1, 0xc20, v44
	v_add_co_ci_u32_e64 v1, s1, 0, v49, s1
	v_add_nc_u32_e32 v44, 0x3400, v107
	global_load_dwordx4 v[102:105], v[0:1], off offset:16
	v_add_nc_u32_e32 v0, 0x1400, v107
	ds_read2_b64 v[112:115], v0 offset0:88 offset1:144
	v_add_nc_u32_e32 v0, 0x2c00, v107
	ds_read2_b64 v[49:52], v67 offset0:152 offset1:208
	ds_read2st64_b64 v[116:119], v107 offset1:7
	ds_read2_b64 v[120:123], v0 offset0:104 offset1:160
	ds_read2_b64 v[53:56], v100 offset0:72 offset1:128
	;; [unrolled: 1-line block ×4, first 2 shown]
	ds_read_b64 v[2:3], v99
	ds_read_b64 v[0:1], v111
	ds_read2_b64 v[132:135], v75 offset0:8 offset1:64
	ds_read2_b64 v[136:139], v100 offset0:184 offset1:240
	;; [unrolled: 1-line block ×3, first 2 shown]
	s_waitcnt vmcnt(13) lgkmcnt(12)
	v_mul_f32_e32 v97, v5, v58
	v_mul_f32_e32 v5, v5, v57
	s_waitcnt lgkmcnt(11)
	v_mul_f32_e32 v98, v7, v115
	v_mul_f32_e32 v7, v7, v114
	s_waitcnt vmcnt(12) lgkmcnt(10)
	v_mul_f32_e32 v101, v50, v9
	v_fmac_f32_e32 v97, v4, v57
	v_fma_f32 v100, v4, v58, -v5
	v_mul_f32_e32 v4, v49, v9
	v_fmac_f32_e32 v98, v6, v114
	v_fma_f32 v106, v6, v115, -v7
	s_waitcnt lgkmcnt(8)
	v_mul_f32_e32 v114, v123, v11
	v_fmac_f32_e32 v101, v49, v8
	v_fma_f32 v115, v50, v8, -v4
	v_mul_f32_e32 v4, v122, v11
	v_fmac_f32_e32 v114, v122, v10
	v_fma_f32 v123, v123, v10, -v4
	s_waitcnt vmcnt(11)
	v_mul_f32_e32 v144, v119, v13
	v_mul_f32_e32 v5, v118, v13
	s_waitcnt lgkmcnt(7)
	v_mul_f32_e32 v122, v54, v15
	v_mul_f32_e32 v4, v53, v15
	s_waitcnt vmcnt(10) lgkmcnt(6)
	v_mul_f32_e32 v13, v124, v19
	v_fmac_f32_e32 v144, v118, v12
	v_fma_f32 v118, v119, v12, -v5
	v_mul_f32_e32 v119, v52, v17
	v_mul_f32_e32 v12, v51, v17
	v_fmac_f32_e32 v122, v53, v14
	v_fma_f32 v145, v54, v14, -v4
	v_mul_f32_e32 v146, v125, v19
	ds_read_b64 v[10:11], v80
	ds_read_b64 v[8:9], v108
	;; [unrolled: 1-line block ×4, first 2 shown]
	v_fmac_f32_e32 v119, v51, v16
	v_fma_f32 v147, v52, v16, -v12
	s_waitcnt vmcnt(9)
	v_mul_f32_e32 v16, v55, v23
	v_fma_f32 v125, v125, v18, -v13
	ds_read2_b64 v[12:15], v77 offset0:104 offset1:160
	v_fmac_f32_e32 v146, v124, v18
	v_mul_f32_e32 v124, v56, v23
	v_fma_f32 v148, v56, v22, -v16
	ds_read2_b64 v[16:19], v75 offset0:120 offset1:176
	s_waitcnt vmcnt(8)
	v_mul_f32_e32 v75, v127, v27
	v_mul_f32_e32 v27, v126, v27
	s_waitcnt lgkmcnt(11)
	v_mul_f32_e32 v77, v129, v21
	v_mul_f32_e32 v21, v128, v21
	v_fmac_f32_e32 v124, v55, v22
	v_fmac_f32_e32 v75, v126, v26
	v_fma_f32 v126, v127, v26, -v27
	v_fmac_f32_e32 v77, v128, v20
	v_fma_f32 v128, v129, v20, -v21
	s_waitcnt lgkmcnt(8)
	v_mul_f32_e32 v129, v133, v25
	s_waitcnt vmcnt(7)
	v_mul_f32_e32 v127, v131, v29
	v_mul_f32_e32 v29, v130, v29
	ds_read2_b64 v[20:23], v67 offset0:40 offset1:96
	v_mul_f32_e32 v25, v132, v25
	v_fmac_f32_e32 v129, v132, v24
	v_fmac_f32_e32 v127, v130, v28
	v_fma_f32 v130, v131, v28, -v29
	s_waitcnt lgkmcnt(8)
	v_mul_f32_e32 v28, v136, v31
	v_mul_f32_e32 v132, v137, v31
	v_fma_f32 v133, v133, v24, -v25
	ds_read2_b64 v[24:27], v61 offset0:56 offset1:112
	s_waitcnt vmcnt(6)
	v_mul_f32_e32 v131, v135, v33
	v_fma_f32 v137, v137, v30, -v28
	v_mul_f32_e32 v29, v134, v33
	s_waitcnt lgkmcnt(8)
	v_mul_f32_e32 v31, v140, v35
	s_waitcnt vmcnt(5) lgkmcnt(3)
	v_mul_f32_e32 v28, v12, v37
	v_mul_f32_e32 v61, v13, v37
	s_waitcnt vmcnt(4) lgkmcnt(2)
	v_mul_f32_e32 v59, v17, v41
	v_fmac_f32_e32 v131, v134, v32
	v_fma_f32 v134, v135, v32, -v29
	v_fma_f32 v54, v13, v36, -v28
	v_mul_f32_e32 v13, v142, v43
	v_fmac_f32_e32 v61, v12, v36
	v_mul_f32_e32 v12, v16, v41
	s_waitcnt vmcnt(3)
	v_mul_f32_e32 v52, v15, v46
	v_mul_f32_e32 v57, v139, v39
	v_fma_f32 v58, v143, v42, -v13
	v_mul_f32_e32 v29, v138, v39
	v_fmac_f32_e32 v59, v16, v40
	v_mul_f32_e32 v16, v14, v46
	s_waitcnt vmcnt(2)
	v_mul_f32_e32 v13, v18, v90
	v_fma_f32 v56, v17, v40, -v12
	v_fmac_f32_e32 v52, v14, v45
	s_waitcnt lgkmcnt(1)
	v_mul_f32_e32 v49, v21, v48
	v_mul_f32_e32 v12, v20, v48
	v_fma_f32 v48, v19, v89, -v13
	v_fmac_f32_e32 v57, v138, v38
	v_fma_f32 v55, v139, v38, -v29
	v_mul_f32_e32 v67, v143, v43
	v_fmac_f32_e32 v49, v20, v47
	v_fma_f32 v47, v21, v47, -v12
	s_waitcnt lgkmcnt(0)
	v_mul_f32_e32 v12, v24, v92
	v_mul_f32_e32 v50, v19, v90
	v_fmac_f32_e32 v67, v142, v42
	v_fma_f32 v46, v15, v45, -v16
	s_waitcnt vmcnt(1)
	v_mul_f32_e32 v13, v112, v94
	v_mul_f32_e32 v14, v22, v96
	v_fma_f32 v51, v25, v91, -v12
	v_add_f32_e32 v12, v98, v101
	v_fmac_f32_e32 v50, v18, v89
	v_fma_f32 v38, v113, v93, -v13
	v_fma_f32 v39, v23, v95, -v14
	v_add_f32_e32 v14, v116, v97
	s_waitcnt vmcnt(0)
	v_mul_f32_e32 v13, v120, v103
	v_mul_f32_e32 v40, v23, v96
	v_fma_f32 v12, -0.5, v12, v116
	v_sub_f32_e32 v15, v100, v123
	v_sub_f32_e32 v16, v97, v98
	v_fma_f32 v42, v121, v102, -v13
	v_add_f32_e32 v13, v14, v98
	v_sub_f32_e32 v18, v114, v101
	v_add_f32_e32 v19, v97, v114
	v_mul_f32_e32 v20, v26, v105
	v_fmac_f32_e32 v40, v22, v95
	v_add_f32_e32 v13, v13, v101
	v_fmamk_f32 v14, v15, 0xbf737871, v12
	v_sub_f32_e32 v17, v106, v115
	v_add_f32_e32 v21, v16, v18
	v_fma_f32 v16, -0.5, v19, v116
	v_fma_f32 v44, v27, v104, -v20
	v_add_f32_e32 v20, v13, v114
	v_fmac_f32_e32 v12, 0x3f737871, v15
	v_sub_f32_e32 v13, v98, v97
	v_sub_f32_e32 v19, v101, v114
	v_add_f32_e32 v22, v117, v100
	v_add_f32_e32 v23, v106, v115
	v_mul_f32_e32 v53, v25, v92
	v_fmac_f32_e32 v14, 0xbf167918, v17
	v_fmamk_f32 v18, v17, 0x3f737871, v16
	v_fmac_f32_e32 v12, 0x3f167918, v17
	v_add_f32_e32 v19, v13, v19
	v_fmac_f32_e32 v16, 0xbf737871, v17
	v_add_f32_e32 v17, v22, v106
	v_fma_f32 v13, -0.5, v23, v117
	v_sub_f32_e32 v23, v97, v114
	v_fmac_f32_e32 v53, v24, v91
	v_fmac_f32_e32 v14, 0x3e9e377a, v21
	;; [unrolled: 1-line block ×5, first 2 shown]
	v_add_f32_e32 v21, v17, v115
	v_fmamk_f32 v15, v23, 0x3f737871, v13
	v_add_f32_e32 v17, v100, v123
	v_sub_f32_e32 v24, v98, v101
	v_sub_f32_e32 v22, v100, v106
	;; [unrolled: 1-line block ×3, first 2 shown]
	v_fmac_f32_e32 v13, 0xbf737871, v23
	v_mul_f32_e32 v45, v27, v105
	v_fma_f32 v17, -0.5, v17, v117
	v_fmac_f32_e32 v15, 0x3f167918, v24
	v_add_f32_e32 v25, v22, v25
	v_fmac_f32_e32 v13, 0xbf167918, v24
	v_add_f32_e32 v28, v10, v144
	v_fmac_f32_e32 v45, v26, v104
	v_fmac_f32_e32 v18, 0x3e9e377a, v19
	;; [unrolled: 1-line block ×3, first 2 shown]
	v_fmamk_f32 v19, v24, 0xbf737871, v17
	v_sub_f32_e32 v22, v106, v100
	v_sub_f32_e32 v26, v115, v123
	v_fmac_f32_e32 v15, 0x3e9e377a, v25
	v_add_f32_e32 v27, v122, v119
	v_fmac_f32_e32 v13, 0x3e9e377a, v25
	v_fmac_f32_e32 v17, 0x3f737871, v24
	v_add_f32_e32 v25, v28, v122
	v_fmac_f32_e32 v132, v136, v30
	v_fma_f32 v135, v141, v34, -v31
	v_fmac_f32_e32 v19, 0x3f167918, v23
	v_add_f32_e32 v26, v22, v26
	v_fma_f32 v22, -0.5, v27, v10
	v_sub_f32_e32 v27, v118, v125
	v_sub_f32_e32 v28, v144, v122
	v_sub_f32_e32 v30, v146, v119
	v_add_f32_e32 v31, v144, v146
	v_fmac_f32_e32 v17, 0xbf167918, v23
	v_add_f32_e32 v23, v25, v119
	v_fmamk_f32 v24, v27, 0xbf737871, v22
	v_sub_f32_e32 v29, v145, v147
	v_add_f32_e32 v25, v28, v30
	v_fma_f32 v10, -0.5, v31, v10
	v_add_f32_e32 v28, v23, v146
	v_fmac_f32_e32 v22, 0x3f737871, v27
	v_sub_f32_e32 v23, v122, v144
	v_sub_f32_e32 v30, v119, v146
	v_add_f32_e32 v31, v11, v118
	v_add_f32_e32 v32, v145, v147
	v_mul_f32_e32 v136, v141, v35
	v_fmac_f32_e32 v19, 0x3e9e377a, v26
	v_fmac_f32_e32 v24, 0xbf167918, v29
	;; [unrolled: 1-line block ×3, first 2 shown]
	v_fmamk_f32 v26, v29, 0x3f737871, v10
	v_fmac_f32_e32 v22, 0x3f167918, v29
	v_add_f32_e32 v30, v23, v30
	v_fmac_f32_e32 v10, 0xbf737871, v29
	v_add_f32_e32 v29, v31, v145
	v_fma_f32 v23, -0.5, v32, v11
	v_sub_f32_e32 v31, v144, v146
	v_fmac_f32_e32 v136, v140, v34
	v_fmac_f32_e32 v24, 0x3e9e377a, v25
	;; [unrolled: 1-line block ×5, first 2 shown]
	v_add_f32_e32 v27, v29, v147
	v_fmamk_f32 v25, v31, 0x3f737871, v23
	v_add_f32_e32 v29, v118, v125
	v_sub_f32_e32 v32, v122, v119
	v_sub_f32_e32 v33, v118, v145
	;; [unrolled: 1-line block ×3, first 2 shown]
	v_fmac_f32_e32 v23, 0xbf737871, v31
	v_fmac_f32_e32 v11, -0.5, v29
	v_fmac_f32_e32 v25, 0x3f167918, v32
	v_add_f32_e32 v36, v8, v77
	v_add_f32_e32 v33, v33, v34
	v_fmac_f32_e32 v23, 0xbf167918, v32
	v_fmac_f32_e32 v26, 0x3e9e377a, v30
	;; [unrolled: 1-line block ×3, first 2 shown]
	v_add_f32_e32 v29, v27, v125
	v_fmamk_f32 v27, v32, 0xbf737871, v11
	v_sub_f32_e32 v30, v145, v118
	v_sub_f32_e32 v34, v147, v125
	v_fmac_f32_e32 v25, 0x3e9e377a, v33
	v_add_f32_e32 v35, v124, v129
	v_fmac_f32_e32 v23, 0x3e9e377a, v33
	v_fmac_f32_e32 v11, 0x3f737871, v32
	v_add_f32_e32 v33, v36, v124
	v_add_f32_e32 v90, v77, v75
	v_fmac_f32_e32 v27, 0x3f167918, v31
	v_add_f32_e32 v34, v30, v34
	v_fma_f32 v30, -0.5, v35, v8
	v_sub_f32_e32 v35, v128, v126
	v_sub_f32_e32 v37, v148, v133
	;; [unrolled: 1-line block ×4, first 2 shown]
	v_fmac_f32_e32 v11, 0xbf167918, v31
	v_add_f32_e32 v31, v33, v129
	v_fma_f32 v8, -0.5, v90, v8
	v_fmac_f32_e32 v27, 0x3e9e377a, v34
	v_fmamk_f32 v32, v35, 0xbf737871, v30
	v_add_f32_e32 v33, v36, v89
	v_fmac_f32_e32 v11, 0x3e9e377a, v34
	v_add_f32_e32 v36, v31, v75
	v_fmac_f32_e32 v30, 0x3f737871, v35
	v_fmamk_f32 v34, v37, 0x3f737871, v8
	v_sub_f32_e32 v31, v124, v77
	v_sub_f32_e32 v89, v129, v75
	v_add_f32_e32 v90, v9, v128
	v_add_f32_e32 v91, v148, v133
	v_fmac_f32_e32 v8, 0xbf737871, v37
	v_fmac_f32_e32 v32, 0xbf167918, v37
	;; [unrolled: 1-line block ×4, first 2 shown]
	v_add_f32_e32 v89, v31, v89
	v_add_f32_e32 v37, v90, v148
	v_fma_f32 v31, -0.5, v91, v9
	v_fmac_f32_e32 v8, 0x3f167918, v35
	v_sub_f32_e32 v90, v128, v148
	v_sub_f32_e32 v91, v126, v133
	v_mul_f32_e32 v41, v113, v94
	v_sub_f32_e32 v75, v77, v75
	v_fmac_f32_e32 v34, 0x3e9e377a, v89
	v_add_f32_e32 v35, v37, v133
	v_add_f32_e32 v37, v128, v126
	v_fmac_f32_e32 v8, 0x3e9e377a, v89
	v_add_f32_e32 v90, v90, v91
	v_sub_f32_e32 v89, v148, v128
	v_sub_f32_e32 v91, v133, v126
	v_fmac_f32_e32 v41, v112, v93
	v_fmac_f32_e32 v32, 0x3e9e377a, v33
	;; [unrolled: 1-line block ×3, first 2 shown]
	v_fmamk_f32 v33, v75, 0x3f737871, v31
	v_sub_f32_e32 v77, v124, v129
	v_fmac_f32_e32 v9, -0.5, v37
	v_fmac_f32_e32 v31, 0xbf737871, v75
	v_add_f32_e32 v93, v89, v91
	v_add_f32_e32 v91, v6, v127
	;; [unrolled: 1-line block ×3, first 2 shown]
	v_fmac_f32_e32 v33, 0x3f167918, v77
	v_fmamk_f32 v35, v77, 0xbf737871, v9
	v_add_f32_e32 v92, v132, v131
	v_fmac_f32_e32 v31, 0xbf167918, v77
	v_fmac_f32_e32 v9, 0x3f737871, v77
	v_add_f32_e32 v77, v91, v132
	v_fmac_f32_e32 v35, 0x3f167918, v75
	v_fma_f32 v89, -0.5, v92, v6
	v_sub_f32_e32 v92, v130, v135
	v_sub_f32_e32 v94, v127, v132
	;; [unrolled: 1-line block ×3, first 2 shown]
	v_add_f32_e32 v96, v127, v136
	v_fmac_f32_e32 v9, 0xbf167918, v75
	v_add_f32_e32 v75, v77, v131
	v_fmac_f32_e32 v33, 0x3e9e377a, v90
	v_fmac_f32_e32 v31, 0x3e9e377a, v90
	v_fmac_f32_e32 v35, 0x3e9e377a, v93
	v_fmamk_f32 v91, v92, 0xbf737871, v89
	v_sub_f32_e32 v90, v137, v134
	v_add_f32_e32 v77, v94, v95
	v_fma_f32 v6, -0.5, v96, v6
	v_fmac_f32_e32 v9, 0x3e9e377a, v93
	v_add_f32_e32 v93, v75, v136
	v_fmac_f32_e32 v89, 0x3f737871, v92
	v_sub_f32_e32 v75, v132, v127
	v_sub_f32_e32 v94, v131, v136
	v_add_f32_e32 v96, v7, v130
	v_add_f32_e32 v97, v137, v134
	v_fmac_f32_e32 v91, 0xbf167918, v90
	v_fmamk_f32 v95, v90, 0x3f737871, v6
	v_fmac_f32_e32 v89, 0x3f167918, v90
	v_add_f32_e32 v75, v75, v94
	v_fmac_f32_e32 v6, 0xbf737871, v90
	v_add_f32_e32 v94, v96, v137
	v_fma_f32 v90, -0.5, v97, v7
	v_sub_f32_e32 v98, v127, v136
	v_mul_f32_e32 v43, v121, v103
	v_fmac_f32_e32 v91, 0x3e9e377a, v77
	v_fmac_f32_e32 v95, 0xbf167918, v92
	;; [unrolled: 1-line block ×4, first 2 shown]
	v_add_f32_e32 v77, v94, v134
	v_fmamk_f32 v92, v98, 0x3f737871, v90
	v_add_f32_e32 v94, v130, v135
	v_sub_f32_e32 v100, v132, v131
	v_sub_f32_e32 v96, v130, v137
	;; [unrolled: 1-line block ×3, first 2 shown]
	v_fmac_f32_e32 v90, 0xbf737871, v98
	v_fmac_f32_e32 v43, v120, v102
	;; [unrolled: 1-line block ×4, first 2 shown]
	v_fmac_f32_e32 v7, -0.5, v94
	v_fmac_f32_e32 v92, 0x3f167918, v100
	v_add_f32_e32 v75, v96, v97
	v_fmac_f32_e32 v90, 0xbf167918, v100
	v_add_f32_e32 v102, v4, v61
	v_add_f32_e32 v94, v77, v135
	v_fmamk_f32 v96, v100, 0xbf737871, v7
	v_sub_f32_e32 v77, v137, v130
	v_sub_f32_e32 v97, v134, v135
	v_fmac_f32_e32 v92, 0x3e9e377a, v75
	v_fmac_f32_e32 v90, 0x3e9e377a, v75
	;; [unrolled: 1-line block ×3, first 2 shown]
	v_add_f32_e32 v75, v102, v57
	v_fmac_f32_e32 v96, 0x3f167918, v98
	v_add_f32_e32 v77, v77, v97
	v_sub_f32_e32 v102, v61, v57
	v_sub_f32_e32 v104, v67, v59
	v_fmac_f32_e32 v7, 0xbf167918, v98
	v_add_f32_e32 v75, v75, v59
	v_add_f32_e32 v101, v57, v59
	v_fmac_f32_e32 v96, 0x3e9e377a, v77
	v_add_f32_e32 v105, v61, v67
	v_add_f32_e32 v106, v102, v104
	v_fmac_f32_e32 v7, 0x3e9e377a, v77
	v_add_f32_e32 v102, v75, v67
	v_sub_f32_e32 v75, v57, v61
	v_sub_f32_e32 v77, v59, v67
	v_add_f32_e32 v98, v5, v54
	v_fma_f32 v97, -0.5, v101, v4
	v_sub_f32_e32 v101, v54, v58
	v_sub_f32_e32 v103, v55, v56
	v_fma_f32 v4, -0.5, v105, v4
	v_add_f32_e32 v105, v55, v56
	v_add_f32_e32 v75, v75, v77
	;; [unrolled: 1-line block ×3, first 2 shown]
	v_fmamk_f32 v100, v101, 0xbf737871, v97
	v_fmac_f32_e32 v97, 0x3f737871, v101
	v_fmamk_f32 v104, v103, 0x3f737871, v4
	v_fmac_f32_e32 v4, 0xbf737871, v103
	v_fma_f32 v98, -0.5, v105, v5
	v_sub_f32_e32 v61, v61, v67
	v_add_f32_e32 v67, v77, v56
	v_add_f32_e32 v77, v54, v58
	v_fmac_f32_e32 v100, 0xbf167918, v103
	v_fmac_f32_e32 v97, 0x3f167918, v103
	;; [unrolled: 1-line block ×4, first 2 shown]
	v_fmamk_f32 v101, v61, 0x3f737871, v98
	v_sub_f32_e32 v57, v57, v59
	v_sub_f32_e32 v59, v54, v55
	v_sub_f32_e32 v105, v58, v56
	v_fmac_f32_e32 v5, -0.5, v77
	v_add_f32_e32 v103, v67, v58
	v_fmac_f32_e32 v98, 0xbf737871, v61
	v_sub_f32_e32 v54, v55, v54
	v_sub_f32_e32 v55, v56, v58
	v_add_f32_e32 v58, v2, v52
	v_fmac_f32_e32 v101, 0x3f167918, v57
	v_add_f32_e32 v59, v59, v105
	v_fmamk_f32 v105, v57, 0xbf737871, v5
	v_add_f32_e32 v56, v49, v50
	v_fmac_f32_e32 v98, 0xbf167918, v57
	v_fmac_f32_e32 v5, 0x3f737871, v57
	v_add_f32_e32 v57, v58, v49
	v_fmac_f32_e32 v104, 0x3e9e377a, v75
	v_fmac_f32_e32 v4, 0x3e9e377a, v75
	;; [unrolled: 1-line block ×3, first 2 shown]
	v_add_f32_e32 v55, v54, v55
	v_fma_f32 v54, -0.5, v56, v2
	v_sub_f32_e32 v67, v46, v51
	v_sub_f32_e32 v58, v52, v49
	v_sub_f32_e32 v75, v53, v50
	v_add_f32_e32 v77, v52, v53
	v_fmac_f32_e32 v5, 0xbf167918, v61
	v_add_f32_e32 v57, v57, v50
	v_fmac_f32_e32 v101, 0x3e9e377a, v59
	v_fmac_f32_e32 v98, 0x3e9e377a, v59
	;; [unrolled: 1-line block ×3, first 2 shown]
	v_fmamk_f32 v56, v67, 0xbf737871, v54
	v_sub_f32_e32 v59, v47, v48
	v_add_f32_e32 v61, v58, v75
	v_fma_f32 v2, -0.5, v77, v2
	v_fmac_f32_e32 v5, 0x3e9e377a, v55
	v_add_f32_e32 v58, v57, v53
	v_fmac_f32_e32 v54, 0x3f737871, v67
	v_sub_f32_e32 v55, v49, v52
	v_sub_f32_e32 v57, v50, v53
	v_add_f32_e32 v75, v3, v46
	v_add_f32_e32 v77, v47, v48
	v_fmac_f32_e32 v100, 0x3e9e377a, v106
	v_fmac_f32_e32 v97, 0x3e9e377a, v106
	;; [unrolled: 1-line block ×3, first 2 shown]
	v_fmamk_f32 v112, v59, 0x3f737871, v2
	v_fmac_f32_e32 v54, 0x3f167918, v59
	v_add_f32_e32 v106, v55, v57
	v_fmac_f32_e32 v2, 0xbf737871, v59
	v_add_f32_e32 v57, v75, v47
	v_fma_f32 v55, -0.5, v77, v3
	v_sub_f32_e32 v52, v52, v53
	v_add_f32_e32 v59, v46, v51
	v_fmac_f32_e32 v56, 0x3e9e377a, v61
	v_fmac_f32_e32 v54, 0x3e9e377a, v61
	v_add_f32_e32 v53, v57, v48
	v_fmamk_f32 v57, v52, 0x3f737871, v55
	v_sub_f32_e32 v49, v49, v50
	v_sub_f32_e32 v50, v46, v47
	;; [unrolled: 1-line block ×3, first 2 shown]
	v_fmac_f32_e32 v3, -0.5, v59
	v_fmac_f32_e32 v55, 0xbf737871, v52
	v_sub_f32_e32 v46, v47, v46
	v_sub_f32_e32 v47, v48, v51
	v_add_f32_e32 v48, v40, v43
	v_add_f32_e32 v59, v53, v51
	v_fmac_f32_e32 v57, 0x3f167918, v49
	v_add_f32_e32 v50, v50, v61
	v_fmamk_f32 v113, v49, 0xbf737871, v3
	v_fmac_f32_e32 v55, 0xbf167918, v49
	v_add_f32_e32 v47, v46, v47
	v_fmac_f32_e32 v3, 0x3f737871, v49
	v_fma_f32 v46, -0.5, v48, v0
	v_sub_f32_e32 v51, v38, v44
	v_fmac_f32_e32 v57, 0x3e9e377a, v50
	v_fmac_f32_e32 v113, 0x3f167918, v52
	v_add_f32_e32 v49, v0, v41
	v_fmac_f32_e32 v55, 0x3e9e377a, v50
	v_fmac_f32_e32 v3, 0xbf167918, v52
	v_fmamk_f32 v48, v51, 0xbf737871, v46
	v_sub_f32_e32 v53, v39, v42
	v_sub_f32_e32 v50, v41, v40
	;; [unrolled: 1-line block ×3, first 2 shown]
	v_fmac_f32_e32 v46, 0x3f737871, v51
	v_add_f32_e32 v61, v41, v45
	v_add_f32_e32 v49, v49, v40
	v_fmac_f32_e32 v48, 0xbf167918, v53
	v_add_f32_e32 v52, v50, v52
	v_fmac_f32_e32 v46, 0x3f167918, v53
	v_fma_f32 v0, -0.5, v61, v0
	v_add_f32_e32 v49, v49, v43
	v_fmac_f32_e32 v113, 0x3e9e377a, v47
	v_fmac_f32_e32 v48, 0x3e9e377a, v52
	;; [unrolled: 1-line block ×3, first 2 shown]
	v_fmamk_f32 v52, v53, 0x3f737871, v0
	v_fmac_f32_e32 v0, 0xbf737871, v53
	v_add_f32_e32 v53, v1, v38
	v_fmac_f32_e32 v3, 0x3e9e377a, v47
	v_add_f32_e32 v50, v49, v45
	v_add_f32_e32 v47, v39, v42
	v_sub_f32_e32 v49, v40, v41
	v_sub_f32_e32 v61, v43, v45
	v_fmac_f32_e32 v52, 0xbf167918, v51
	v_fmac_f32_e32 v0, 0x3f167918, v51
	v_add_f32_e32 v51, v53, v39
	v_add_f32_e32 v53, v38, v44
	v_fma_f32 v47, -0.5, v47, v1
	v_sub_f32_e32 v41, v41, v45
	v_add_f32_e32 v45, v49, v61
	v_sub_f32_e32 v40, v40, v43
	v_fmac_f32_e32 v1, -0.5, v53
	v_add_f32_e32 v43, v51, v42
	v_fmamk_f32 v49, v41, 0x3f737871, v47
	v_fmac_f32_e32 v52, 0x3e9e377a, v45
	v_fmac_f32_e32 v0, 0x3e9e377a, v45
	v_sub_f32_e32 v45, v38, v39
	v_sub_f32_e32 v51, v44, v42
	v_fmac_f32_e32 v47, 0xbf737871, v41
	v_fmamk_f32 v53, v40, 0xbf737871, v1
	v_sub_f32_e32 v38, v39, v38
	v_sub_f32_e32 v39, v42, v44
	v_fmac_f32_e32 v1, 0x3f737871, v40
	v_fmac_f32_e32 v2, 0x3f167918, v67
	v_add_f32_e32 v21, v21, v123
	v_fmac_f32_e32 v112, 0xbf167918, v67
	v_fmac_f32_e32 v49, 0x3f167918, v40
	v_add_f32_e32 v42, v45, v51
	;; [unrolled: 3-line block ×3, first 2 shown]
	v_fmac_f32_e32 v1, 0xbf167918, v41
	v_fmac_f32_e32 v2, 0x3e9e377a, v106
	;; [unrolled: 1-line block ×3, first 2 shown]
	v_add_f32_e32 v51, v43, v44
	v_fmac_f32_e32 v49, 0x3e9e377a, v42
	v_fmac_f32_e32 v47, 0x3e9e377a, v42
	;; [unrolled: 1-line block ×4, first 2 shown]
	s_barrier
	buffer_gl0_inv
	ds_write_b64 v107, v[20:21]
	ds_write_b64 v107, v[14:15] offset:3136
	ds_write_b64 v107, v[18:19] offset:6272
	ds_write_b64 v107, v[16:17] offset:9408
	ds_write_b64 v107, v[12:13] offset:12544
	ds_write_b64 v80, v[28:29]
	ds_write_b64 v80, v[24:25] offset:3136
	ds_write_b64 v80, v[26:27] offset:6272
	ds_write_b64 v80, v[10:11] offset:9408
	ds_write_b64 v80, v[22:23] offset:12544
	;; [unrolled: 5-line block ×7, first 2 shown]
	s_waitcnt lgkmcnt(0)
	s_barrier
	buffer_gl0_inv
	ds_read_b64 v[2:3], v107
	v_lshlrev_b32_e32 v0, 3, v60
                                        ; implicit-def: $vgpr1
                                        ; implicit-def: $vgpr5
	v_sub_nc_u32_e32 v4, 0, v0
	v_cmpx_ne_u32_e32 0, v60
	s_xor_b32 s6, exec_lo, s6
	s_cbranch_execz .LBB0_21
; %bb.20:
	v_mov_b32_e32 v61, 0
	v_lshlrev_b64 v[0:1], 3, v[60:61]
	v_add_co_u32 v0, s1, s4, v0
	v_add_co_ci_u32_e64 v1, s1, s5, v1, s1
	global_load_dwordx2 v[6:7], v[0:1], off
	ds_read_b64 v[0:1], v4 offset:15680
	s_waitcnt lgkmcnt(0)
	v_sub_f32_e32 v5, v2, v0
	v_add_f32_e32 v8, v1, v3
	v_sub_f32_e32 v1, v3, v1
	v_add_f32_e32 v0, v0, v2
	v_mul_f32_e32 v3, 0.5, v5
	v_mul_f32_e32 v2, 0.5, v8
	;; [unrolled: 1-line block ×3, first 2 shown]
	s_waitcnt vmcnt(0)
	v_mul_f32_e32 v5, v7, v3
	v_fma_f32 v8, v2, v7, v1
	v_fma_f32 v1, v2, v7, -v1
	v_fma_f32 v9, 0.5, v0, v5
	v_fma_f32 v0, v0, 0.5, -v5
	v_fma_f32 v5, -v6, v3, v8
	v_fma_f32 v1, -v6, v3, v1
	v_fmac_f32_e32 v9, v6, v2
	v_fma_f32 v0, -v6, v2, v0
                                        ; implicit-def: $vgpr2_vgpr3
	ds_write_b32 v107, v9
.LBB0_21:
	s_andn2_saveexec_b32 s1, s6
	s_cbranch_execz .LBB0_23
; %bb.22:
	v_mov_b32_e32 v5, 0
	s_waitcnt lgkmcnt(0)
	v_add_f32_e32 v6, v2, v3
	v_sub_f32_e32 v0, v2, v3
	ds_read_b32 v1, v5 offset:7844
	s_waitcnt lgkmcnt(0)
	v_xor_b32_e32 v2, 0x80000000, v1
	v_mov_b32_e32 v1, v5
	ds_write_b32 v107, v6
	ds_write_b32 v5, v2 offset:7844
.LBB0_23:
	s_or_b32 exec_lo, exec_lo, s1
	v_mov_b32_e32 v67, 0
	s_waitcnt lgkmcnt(0)
	v_lshlrev_b64 v[2:3], 3, v[66:67]
	v_mov_b32_e32 v75, v67
	v_mov_b32_e32 v77, v67
	v_lshlrev_b64 v[6:7], 3, v[74:75]
	v_add_co_u32 v2, s1, s4, v2
	v_add_co_ci_u32_e64 v3, s1, s5, v3, s1
	v_mov_b32_e32 v74, v67
	v_add_co_u32 v6, s1, s4, v6
	global_load_dwordx2 v[2:3], v[2:3], off
	v_add_co_ci_u32_e64 v7, s1, s5, v7, s1
	v_lshlrev_b64 v[8:9], 3, v[73:74]
	v_mov_b32_e32 v73, v67
	global_load_dwordx2 v[6:7], v[6:7], off
	v_add_co_u32 v8, s1, s4, v8
	v_add_co_ci_u32_e64 v9, s1, s5, v9, s1
	v_lshlrev_b64 v[10:11], 3, v[72:73]
	v_mov_b32_e32 v72, v67
	global_load_dwordx2 v[8:9], v[8:9], off
	v_add_co_u32 v10, s1, s4, v10
	v_add_co_ci_u32_e64 v11, s1, s5, v11, s1
	v_lshlrev_b64 v[12:13], 3, v[71:72]
	v_mov_b32_e32 v71, v67
	global_load_dwordx2 v[10:11], v[10:11], off
	v_add_co_u32 v12, s1, s4, v12
	v_add_co_ci_u32_e64 v13, s1, s5, v13, s1
	v_lshlrev_b64 v[14:15], 3, v[70:71]
	v_mov_b32_e32 v70, v67
	global_load_dwordx2 v[12:13], v[12:13], off
	v_add_co_u32 v14, s1, s4, v14
	v_add_co_ci_u32_e64 v15, s1, s5, v15, s1
	v_lshlrev_b64 v[16:17], 3, v[69:70]
	v_mov_b32_e32 v69, v67
	global_load_dwordx2 v[14:15], v[14:15], off
	ds_write_b32 v107, v5 offset:4
	ds_write_b64 v4, v[0:1] offset:15680
	ds_read_b64 v[0:1], v80
	ds_read_b64 v[18:19], v4 offset:15232
	v_add_co_u32 v16, s1, s4, v16
	v_add_co_ci_u32_e64 v17, s1, s5, v17, s1
	global_load_dwordx2 v[16:17], v[16:17], off
	s_waitcnt lgkmcnt(0)
	v_sub_f32_e32 v5, v0, v18
	v_add_f32_e32 v20, v1, v19
	v_sub_f32_e32 v1, v1, v19
	v_add_f32_e32 v18, v0, v18
	v_mul_f32_e32 v5, 0.5, v5
	v_mul_f32_e32 v19, 0.5, v20
	;; [unrolled: 1-line block ×3, first 2 shown]
	s_waitcnt vmcnt(6)
	v_mul_f32_e32 v20, v3, v5
	v_fma_f32 v21, v19, v3, v1
	v_fma_f32 v3, v19, v3, -v1
	v_fma_f32 v0, 0.5, v18, v20
	v_fma_f32 v18, v18, 0.5, -v20
	v_fma_f32 v1, -v2, v5, v21
	v_fma_f32 v3, -v2, v5, v3
	v_fmac_f32_e32 v0, v2, v19
	v_fma_f32 v2, -v2, v19, v18
	v_lshlrev_b64 v[18:19], 3, v[68:69]
	ds_write_b64 v80, v[0:1]
	ds_write_b64 v4, v[2:3] offset:15232
	ds_read_b64 v[0:1], v108
	ds_read_b64 v[2:3], v4 offset:14784
	v_mov_b32_e32 v80, v67
	v_add_co_u32 v18, s1, s4, v18
	v_add_co_ci_u32_e64 v19, s1, s5, v19, s1
	global_load_dwordx2 v[18:19], v[18:19], off
	s_waitcnt lgkmcnt(0)
	v_sub_f32_e32 v5, v0, v2
	v_add_f32_e32 v20, v1, v3
	v_sub_f32_e32 v1, v1, v3
	v_add_f32_e32 v2, v0, v2
	v_mul_f32_e32 v3, 0.5, v5
	v_mul_f32_e32 v5, 0.5, v20
	;; [unrolled: 1-line block ×3, first 2 shown]
	s_waitcnt vmcnt(6)
	v_mul_f32_e32 v20, v7, v3
	v_fma_f32 v21, v5, v7, v1
	v_fma_f32 v7, v5, v7, -v1
	v_fma_f32 v0, 0.5, v2, v20
	v_fma_f32 v2, v2, 0.5, -v20
	v_fma_f32 v1, -v6, v3, v21
	v_fma_f32 v3, -v6, v3, v7
	v_fmac_f32_e32 v0, v6, v5
	v_fma_f32 v2, -v6, v5, v2
	v_lshlrev_b64 v[5:6], 3, v[79:80]
	v_mov_b32_e32 v79, v67
	ds_write_b64 v108, v[0:1]
	ds_write_b64 v4, v[2:3] offset:14784
	ds_read_b64 v[0:1], v83
	ds_read_b64 v[2:3], v4 offset:14336
	v_add_co_u32 v5, s1, s4, v5
	v_add_co_ci_u32_e64 v6, s1, s5, v6, s1
	global_load_dwordx2 v[5:6], v[5:6], off
	s_waitcnt lgkmcnt(0)
	v_sub_f32_e32 v7, v0, v2
	v_add_f32_e32 v20, v1, v3
	v_sub_f32_e32 v1, v1, v3
	v_add_f32_e32 v2, v0, v2
	v_mul_f32_e32 v3, 0.5, v7
	v_mul_f32_e32 v7, 0.5, v20
	;; [unrolled: 1-line block ×3, first 2 shown]
	s_waitcnt vmcnt(6)
	v_mul_f32_e32 v20, v9, v3
	v_fma_f32 v21, v7, v9, v1
	v_fma_f32 v9, v7, v9, -v1
	v_fma_f32 v0, 0.5, v2, v20
	v_fma_f32 v2, v2, 0.5, -v20
	v_fma_f32 v1, -v8, v3, v21
	v_fma_f32 v3, -v8, v3, v9
	v_fmac_f32_e32 v0, v8, v7
	v_fma_f32 v2, -v8, v7, v2
	v_lshlrev_b64 v[7:8], 3, v[76:77]
	ds_write_b64 v83, v[0:1]
	ds_write_b64 v4, v[2:3] offset:14336
	ds_read_b64 v[0:1], v87
	ds_read_b64 v[2:3], v4 offset:13888
	v_mov_b32_e32 v83, v67
	v_add_co_u32 v7, s1, s4, v7
	v_add_co_ci_u32_e64 v8, s1, s5, v8, s1
	global_load_dwordx2 v[7:8], v[7:8], off
	s_waitcnt lgkmcnt(0)
	v_sub_f32_e32 v9, v0, v2
	v_add_f32_e32 v20, v1, v3
	v_sub_f32_e32 v1, v1, v3
	v_add_f32_e32 v2, v0, v2
	v_mul_f32_e32 v9, 0.5, v9
	v_mul_f32_e32 v20, 0.5, v20
	;; [unrolled: 1-line block ×3, first 2 shown]
	s_waitcnt vmcnt(6)
	v_mul_f32_e32 v3, v11, v9
	v_fma_f32 v21, v20, v11, v1
	v_fma_f32 v11, v20, v11, -v1
	v_fma_f32 v0, 0.5, v2, v3
	v_fma_f32 v22, v2, 0.5, -v3
	v_lshlrev_b64 v[2:3], 3, v[82:83]
	v_fma_f32 v1, -v10, v9, v21
	v_fma_f32 v11, -v10, v9, v11
	v_fmac_f32_e32 v0, v10, v20
	v_fma_f32 v10, -v10, v20, v22
	v_mov_b32_e32 v82, v67
	v_add_co_u32 v2, s1, s4, v2
	v_add_co_ci_u32_e64 v3, s1, s5, v3, s1
	ds_write_b64 v87, v[0:1]
	ds_write_b64 v4, v[10:11] offset:13888
	ds_read_b64 v[0:1], v99
	ds_read_b64 v[9:10], v4 offset:13440
	v_mov_b32_e32 v87, v67
	global_load_dwordx2 v[2:3], v[2:3], off
	s_waitcnt lgkmcnt(0)
	v_sub_f32_e32 v11, v0, v9
	v_add_f32_e32 v20, v1, v10
	v_sub_f32_e32 v1, v1, v10
	v_add_f32_e32 v9, v0, v9
	v_mul_f32_e32 v11, 0.5, v11
	v_mul_f32_e32 v20, 0.5, v20
	v_mul_f32_e32 v1, 0.5, v1
	s_waitcnt vmcnt(6)
	v_mul_f32_e32 v10, v13, v11
	v_fma_f32 v21, v20, v13, v1
	v_fma_f32 v13, v20, v13, -v1
	v_fma_f32 v0, 0.5, v9, v10
	v_fma_f32 v22, v9, 0.5, -v10
	v_lshlrev_b64 v[9:10], 3, v[86:87]
	v_fma_f32 v1, -v12, v11, v21
	v_fma_f32 v13, -v12, v11, v13
	v_fmac_f32_e32 v0, v12, v20
	v_fma_f32 v12, -v12, v20, v22
	ds_write_b64 v99, v[0:1]
	ds_write_b64 v4, v[12:13] offset:13440
	v_add_co_u32 v9, s1, s4, v9
	v_add_co_ci_u32_e64 v10, s1, s5, v10, s1
	ds_read_b64 v[0:1], v111
	ds_read_b64 v[11:12], v4 offset:12992
	v_mov_b32_e32 v86, v67
	global_load_dwordx2 v[9:10], v[9:10], off
	s_waitcnt lgkmcnt(0)
	v_sub_f32_e32 v13, v0, v11
	v_add_f32_e32 v20, v1, v12
	v_sub_f32_e32 v1, v1, v12
	v_add_f32_e32 v11, v0, v11
	v_mul_f32_e32 v13, 0.5, v13
	v_mul_f32_e32 v20, 0.5, v20
	v_mul_f32_e32 v1, 0.5, v1
	s_waitcnt vmcnt(6)
	v_mul_f32_e32 v12, v15, v13
	v_fma_f32 v21, v20, v15, v1
	v_fma_f32 v15, v20, v15, -v1
	v_fma_f32 v0, 0.5, v11, v12
	v_fma_f32 v22, v11, 0.5, -v12
	v_lshlrev_b64 v[11:12], 3, v[85:86]
	v_fma_f32 v1, -v14, v13, v21
	v_fma_f32 v15, -v14, v13, v15
	v_fmac_f32_e32 v0, v14, v20
	v_fma_f32 v14, -v14, v20, v22
	ds_write_b64 v111, v[0:1]
	ds_write_b64 v4, v[14:15] offset:12992
	v_add_co_u32 v11, s1, s4, v11
	v_add_co_ci_u32_e64 v12, s1, s5, v12, s1
	;; [unrolled: 27-line block ×3, first 2 shown]
	ds_read_b64 v[0:1], v109
	ds_read_b64 v[15:16], v4 offset:12096
	global_load_dwordx2 v[13:14], v[13:14], off
	s_waitcnt lgkmcnt(0)
	v_sub_f32_e32 v17, v0, v15
	v_add_f32_e32 v20, v1, v16
	v_sub_f32_e32 v1, v1, v16
	v_add_f32_e32 v15, v0, v15
	v_mul_f32_e32 v17, 0.5, v17
	v_mul_f32_e32 v20, 0.5, v20
	;; [unrolled: 1-line block ×3, first 2 shown]
	s_waitcnt vmcnt(6)
	v_mul_f32_e32 v16, v19, v17
	v_fma_f32 v21, v20, v19, v1
	v_fma_f32 v19, v20, v19, -v1
	v_fma_f32 v0, 0.5, v15, v16
	v_fma_f32 v22, v15, 0.5, -v16
	v_lshlrev_b64 v[15:16], 3, v[78:79]
	v_fma_f32 v1, -v18, v17, v21
	v_fma_f32 v19, -v18, v17, v19
	v_fmac_f32_e32 v0, v18, v20
	v_fma_f32 v18, -v18, v20, v22
	ds_write_b64 v109, v[0:1]
	ds_write_b64 v4, v[18:19] offset:12096
	v_add_co_u32 v15, s1, s4, v15
	v_add_co_ci_u32_e64 v16, s1, s5, v16, s1
	ds_read_b64 v[0:1], v107 offset:4032
	ds_read_b64 v[17:18], v4 offset:11648
	global_load_dwordx2 v[15:16], v[15:16], off
	s_waitcnt lgkmcnt(0)
	v_add_f32_e32 v20, v1, v18
	v_sub_f32_e32 v1, v1, v18
	v_sub_f32_e32 v19, v0, v17
	v_add_f32_e32 v21, v0, v17
	v_mul_f32_e32 v20, 0.5, v20
	v_mul_f32_e32 v18, 0.5, v1
	v_lshlrev_b64 v[0:1], 3, v[81:82]
	v_mul_f32_e32 v19, 0.5, v19
	s_waitcnt vmcnt(6)
	v_fma_f32 v23, v20, v6, v18
	v_add_co_u32 v0, s1, s4, v0
	v_add_co_ci_u32_e64 v1, s1, s5, v1, s1
	v_mul_f32_e32 v22, v6, v19
	v_fma_f32 v6, v20, v6, -v18
	v_fma_f32 v18, -v5, v19, v23
	global_load_dwordx2 v[0:1], v[0:1], off
	v_fma_f32 v17, 0.5, v21, v22
	v_fma_f32 v21, v21, 0.5, -v22
	v_fma_f32 v6, -v5, v19, v6
	v_fmac_f32_e32 v17, v5, v20
	v_fma_f32 v5, -v5, v20, v21
	ds_write_b64 v107, v[17:18] offset:4032
	ds_write_b64 v4, v[5:6] offset:11648
	ds_read_b64 v[5:6], v107 offset:4480
	ds_read_b64 v[17:18], v4 offset:11200
	s_waitcnt lgkmcnt(0)
	v_sub_f32_e32 v19, v5, v17
	v_add_f32_e32 v20, v6, v18
	v_sub_f32_e32 v6, v6, v18
	v_add_f32_e32 v17, v5, v17
	v_mul_f32_e32 v18, 0.5, v19
	v_mul_f32_e32 v19, 0.5, v20
	v_mul_f32_e32 v6, 0.5, v6
	s_waitcnt vmcnt(6)
	v_mul_f32_e32 v20, v8, v18
	v_fma_f32 v21, v19, v8, v6
	v_fma_f32 v8, v19, v8, -v6
	v_fma_f32 v5, 0.5, v17, v20
	v_fma_f32 v17, v17, 0.5, -v20
	v_fma_f32 v6, -v7, v18, v21
	v_fma_f32 v8, -v7, v18, v8
	v_fmac_f32_e32 v5, v7, v19
	v_fma_f32 v7, -v7, v19, v17
	ds_write_b64 v107, v[5:6] offset:4480
	ds_write_b64 v4, v[7:8] offset:11200
	ds_read_b64 v[5:6], v107 offset:4928
	ds_read_b64 v[7:8], v4 offset:10752
	s_waitcnt lgkmcnt(0)
	v_sub_f32_e32 v17, v5, v7
	v_add_f32_e32 v18, v6, v8
	v_sub_f32_e32 v6, v6, v8
	v_add_f32_e32 v7, v5, v7
	v_mul_f32_e32 v8, 0.5, v17
	v_mul_f32_e32 v17, 0.5, v18
	v_mul_f32_e32 v6, 0.5, v6
	s_waitcnt vmcnt(5)
	v_mul_f32_e32 v18, v3, v8
	v_fma_f32 v19, v17, v3, v6
	v_fma_f32 v3, v17, v3, -v6
	v_fma_f32 v5, 0.5, v7, v18
	v_fma_f32 v7, v7, 0.5, -v18
	v_fma_f32 v6, -v2, v8, v19
	;; [unrolled: 22-line block ×7, first 2 shown]
	v_fma_f32 v6, -v0, v6, v3
	v_fmac_f32_e32 v1, v0, v7
	v_fma_f32 v5, -v0, v7, v5
	ds_write_b64 v107, v[1:2] offset:7168
	ds_write_b64 v4, v[5:6] offset:8512
	s_and_saveexec_b32 s1, s0
	s_cbranch_execz .LBB0_25
; %bb.24:
	v_mov_b32_e32 v89, v67
	v_lshlrev_b64 v[0:1], 3, v[88:89]
	v_add_co_u32 v0, s0, s4, v0
	v_add_co_ci_u32_e64 v1, s0, s5, v1, s0
	global_load_dwordx2 v[0:1], v[0:1], off
	ds_read_b64 v[2:3], v107 offset:7616
	ds_read_b64 v[5:6], v4 offset:8064
	s_waitcnt lgkmcnt(0)
	v_sub_f32_e32 v7, v2, v5
	v_add_f32_e32 v8, v3, v6
	v_sub_f32_e32 v3, v3, v6
	v_add_f32_e32 v2, v2, v5
	v_mul_f32_e32 v6, 0.5, v7
	v_mul_f32_e32 v7, 0.5, v8
	;; [unrolled: 1-line block ×3, first 2 shown]
	s_waitcnt vmcnt(0)
	v_mul_f32_e32 v5, v1, v6
	v_fma_f32 v8, v7, v1, v3
	v_fma_f32 v3, v7, v1, -v3
	v_fma_f32 v1, 0.5, v2, v5
	v_fma_f32 v5, v2, 0.5, -v5
	v_fma_f32 v2, -v0, v6, v8
	v_fma_f32 v6, -v0, v6, v3
	v_fmac_f32_e32 v1, v0, v7
	v_fma_f32 v5, -v0, v7, v5
	ds_write_b64 v107, v[1:2] offset:7616
	ds_write_b64 v4, v[5:6] offset:8064
.LBB0_25:
	s_or_b32 exec_lo, exec_lo, s1
	s_waitcnt lgkmcnt(0)
	s_barrier
	buffer_gl0_inv
	s_and_saveexec_b32 s0, vcc_lo
	s_cbranch_execz .LBB0_28
; %bb.26:
	v_mul_lo_u32 v2, s3, v64
	v_mul_lo_u32 v3, s2, v65
	v_mad_u64_u32 v[0:1], null, s2, v64, 0
	v_lshl_add_u32 v22, v60, 3, 0
	v_mov_b32_e32 v61, 0
	v_lshlrev_b64 v[10:11], 3, v[62:63]
	v_add_nc_u32_e32 v12, 56, v60
	v_add_nc_u32_e32 v14, 0x70, v60
	ds_read2_b64 v[6:9], v22 offset0:112 offset1:168
	v_add3_u32 v1, v1, v3, v2
	ds_read2_b64 v[2:5], v22 offset1:56
	v_mov_b32_e32 v13, v61
	v_lshlrev_b64 v[16:17], 3, v[60:61]
	v_mov_b32_e32 v15, v61
	v_lshlrev_b64 v[0:1], 3, v[0:1]
	v_add_nc_u32_e32 v23, 0x800, v22
	v_lshlrev_b64 v[12:13], 3, v[12:13]
	v_add_nc_u32_e32 v18, 0x150, v60
	v_mov_b32_e32 v19, v61
	v_add_nc_u32_e32 v20, 0x188, v60
	v_add_co_u32 v0, vcc_lo, s10, v0
	v_add_co_ci_u32_e32 v1, vcc_lo, s11, v1, vcc_lo
	v_lshlrev_b64 v[18:19], 3, v[18:19]
	v_add_co_u32 v0, vcc_lo, v0, v10
	v_add_co_ci_u32_e32 v1, vcc_lo, v1, v11, vcc_lo
	v_lshlrev_b64 v[10:11], 3, v[14:15]
	v_add_co_u32 v14, vcc_lo, v0, v16
	v_add_co_ci_u32_e32 v15, vcc_lo, v1, v17, vcc_lo
	v_add_co_u32 v12, vcc_lo, v0, v12
	v_add_co_ci_u32_e32 v13, vcc_lo, v1, v13, vcc_lo
	v_add_co_u32 v10, vcc_lo, v0, v10
	v_add_nc_u32_e32 v16, 0xa8, v60
	v_mov_b32_e32 v17, v61
	v_add_co_ci_u32_e32 v11, vcc_lo, v1, v11, vcc_lo
	s_waitcnt lgkmcnt(0)
	global_store_dwordx2 v[14:15], v[2:3], off
	global_store_dwordx2 v[12:13], v[4:5], off
	;; [unrolled: 1-line block ×3, first 2 shown]
	v_lshlrev_b64 v[2:3], 3, v[16:17]
	v_add_nc_u32_e32 v4, 0x400, v22
	v_add_nc_u32_e32 v10, 0x118, v60
	v_mov_b32_e32 v11, v61
	v_add_nc_u32_e32 v6, 0xe0, v60
	v_mov_b32_e32 v7, v61
	v_add_co_u32 v14, vcc_lo, v0, v2
	v_add_co_ci_u32_e32 v15, vcc_lo, v1, v3, vcc_lo
	ds_read2_b64 v[2:5], v4 offset0:96 offset1:152
	v_lshlrev_b64 v[16:17], 3, v[10:11]
	ds_read2_b64 v[10:13], v23 offset0:80 offset1:136
	v_lshlrev_b64 v[6:7], 3, v[6:7]
	v_mov_b32_e32 v21, v61
	v_add_nc_u32_e32 v24, 0x1000, v22
	v_add_co_u32 v6, vcc_lo, v0, v6
	v_add_co_ci_u32_e32 v7, vcc_lo, v1, v7, vcc_lo
	v_add_co_u32 v16, vcc_lo, v0, v16
	v_add_co_ci_u32_e32 v17, vcc_lo, v1, v17, vcc_lo
	;; [unrolled: 2-line block ×3, first 2 shown]
	global_store_dwordx2 v[14:15], v[8:9], off
	s_waitcnt lgkmcnt(1)
	global_store_dwordx2 v[6:7], v[2:3], off
	global_store_dwordx2 v[16:17], v[4:5], off
	s_waitcnt lgkmcnt(0)
	global_store_dwordx2 v[18:19], v[10:11], off
	v_lshlrev_b64 v[2:3], 3, v[20:21]
	v_add_nc_u32_e32 v6, 0x1c0, v60
	v_mov_b32_e32 v7, v61
	v_add_nc_u32_e32 v8, 0x1f8, v60
	v_mov_b32_e32 v9, v61
	v_add_nc_u32_e32 v18, 0x230, v60
	v_add_co_u32 v10, vcc_lo, v0, v2
	v_add_co_ci_u32_e32 v11, vcc_lo, v1, v3, vcc_lo
	ds_read2_b64 v[2:5], v23 offset0:192 offset1:248
	v_lshlrev_b64 v[14:15], 3, v[6:7]
	v_lshlrev_b64 v[16:17], 3, v[8:9]
	ds_read2_b64 v[6:9], v24 offset0:48 offset1:104
	v_mov_b32_e32 v19, v61
	v_add_nc_u32_e32 v20, 0x268, v60
	v_add_nc_u32_e32 v23, 0x1800, v22
	v_add_co_u32 v14, vcc_lo, v0, v14
	v_lshlrev_b64 v[18:19], 3, v[18:19]
	v_add_co_ci_u32_e32 v15, vcc_lo, v1, v15, vcc_lo
	v_add_co_u32 v16, vcc_lo, v0, v16
	v_add_co_ci_u32_e32 v17, vcc_lo, v1, v17, vcc_lo
	v_add_co_u32 v18, vcc_lo, v0, v18
	v_add_co_ci_u32_e32 v19, vcc_lo, v1, v19, vcc_lo
	global_store_dwordx2 v[10:11], v[12:13], off
	s_waitcnt lgkmcnt(1)
	global_store_dwordx2 v[14:15], v[2:3], off
	global_store_dwordx2 v[16:17], v[4:5], off
	s_waitcnt lgkmcnt(0)
	global_store_dwordx2 v[18:19], v[6:7], off
	v_lshlrev_b64 v[2:3], 3, v[20:21]
	v_add_nc_u32_e32 v10, 0x2d8, v60
	v_mov_b32_e32 v11, v61
	v_add_nc_u32_e32 v6, 0x2a0, v60
	v_mov_b32_e32 v7, v61
	v_add_nc_u32_e32 v18, 0x310, v60
	v_add_co_u32 v14, vcc_lo, v0, v2
	v_add_co_ci_u32_e32 v15, vcc_lo, v1, v3, vcc_lo
	ds_read2_b64 v[2:5], v24 offset0:160 offset1:216
	v_lshlrev_b64 v[16:17], 3, v[10:11]
	ds_read2_b64 v[10:13], v23 offset0:16 offset1:72
	v_lshlrev_b64 v[6:7], 3, v[6:7]
	v_mov_b32_e32 v19, v61
	v_add_nc_u32_e32 v20, 0x348, v60
	v_add_co_u32 v6, vcc_lo, v0, v6
	v_lshlrev_b64 v[18:19], 3, v[18:19]
	v_add_co_ci_u32_e32 v7, vcc_lo, v1, v7, vcc_lo
	v_add_co_u32 v16, vcc_lo, v0, v16
	v_add_co_ci_u32_e32 v17, vcc_lo, v1, v17, vcc_lo
	v_add_co_u32 v18, vcc_lo, v0, v18
	v_add_co_ci_u32_e32 v19, vcc_lo, v1, v19, vcc_lo
	global_store_dwordx2 v[14:15], v[8:9], off
	s_waitcnt lgkmcnt(1)
	global_store_dwordx2 v[6:7], v[2:3], off
	global_store_dwordx2 v[16:17], v[4:5], off
	s_waitcnt lgkmcnt(0)
	global_store_dwordx2 v[18:19], v[10:11], off
	v_lshlrev_b64 v[2:3], 3, v[20:21]
	v_add_nc_u32_e32 v6, 0x380, v60
	v_mov_b32_e32 v7, v61
	v_add_nc_u32_e32 v8, 0x3b8, v60
	v_mov_b32_e32 v9, v61
	v_add_nc_u32_e32 v19, 0x1c00, v22
	v_add_co_u32 v10, vcc_lo, v0, v2
	v_add_co_ci_u32_e32 v11, vcc_lo, v1, v3, vcc_lo
	ds_read2_b64 v[2:5], v23 offset0:128 offset1:184
	v_lshlrev_b64 v[14:15], 3, v[6:7]
	v_lshlrev_b64 v[16:17], 3, v[8:9]
	ds_read2_b64 v[6:9], v19 offset0:112 offset1:168
	v_add_nc_u32_e32 v18, 0x3f0, v60
	v_mov_b32_e32 v19, v61
	v_add_nc_u32_e32 v20, 0x428, v60
	v_add_co_u32 v14, vcc_lo, v0, v14
	v_add_co_ci_u32_e32 v15, vcc_lo, v1, v15, vcc_lo
	v_lshlrev_b64 v[18:19], 3, v[18:19]
	v_add_co_u32 v16, vcc_lo, v0, v16
	v_add_co_ci_u32_e32 v17, vcc_lo, v1, v17, vcc_lo
	v_add_co_u32 v18, vcc_lo, v0, v18
	v_add_co_ci_u32_e32 v19, vcc_lo, v1, v19, vcc_lo
	global_store_dwordx2 v[10:11], v[12:13], off
	s_waitcnt lgkmcnt(1)
	global_store_dwordx2 v[14:15], v[2:3], off
	global_store_dwordx2 v[16:17], v[4:5], off
	s_waitcnt lgkmcnt(0)
	global_store_dwordx2 v[18:19], v[6:7], off
	v_lshlrev_b64 v[2:3], 3, v[20:21]
	v_add_nc_u32_e32 v4, 0x2000, v22
	v_add_nc_u32_e32 v10, 0x498, v60
	v_mov_b32_e32 v11, v61
	v_add_nc_u32_e32 v12, 0x2400, v22
	v_add_nc_u32_e32 v6, 0x460, v60
	v_mov_b32_e32 v7, v61
	v_add_co_u32 v14, vcc_lo, v0, v2
	v_add_co_ci_u32_e32 v15, vcc_lo, v1, v3, vcc_lo
	ds_read2_b64 v[2:5], v4 offset0:96 offset1:152
	v_lshlrev_b64 v[16:17], 3, v[10:11]
	ds_read2_b64 v[10:13], v12 offset0:80 offset1:136
	v_lshlrev_b64 v[6:7], 3, v[6:7]
	v_add_nc_u32_e32 v18, 0x4d0, v60
	v_mov_b32_e32 v19, v61
	v_add_nc_u32_e32 v20, 0x508, v60
	v_add_co_u32 v6, vcc_lo, v0, v6
	v_lshlrev_b64 v[18:19], 3, v[18:19]
	v_add_co_ci_u32_e32 v7, vcc_lo, v1, v7, vcc_lo
	v_add_co_u32 v16, vcc_lo, v0, v16
	v_add_co_ci_u32_e32 v17, vcc_lo, v1, v17, vcc_lo
	v_add_co_u32 v18, vcc_lo, v0, v18
	v_add_co_ci_u32_e32 v19, vcc_lo, v1, v19, vcc_lo
	global_store_dwordx2 v[14:15], v[8:9], off
	s_waitcnt lgkmcnt(1)
	global_store_dwordx2 v[6:7], v[2:3], off
	global_store_dwordx2 v[16:17], v[4:5], off
	s_waitcnt lgkmcnt(0)
	global_store_dwordx2 v[18:19], v[10:11], off
	v_lshlrev_b64 v[2:3], 3, v[20:21]
	v_add_nc_u32_e32 v19, 0x2800, v22
	v_add_nc_u32_e32 v6, 0x540, v60
	v_mov_b32_e32 v7, v61
	v_add_nc_u32_e32 v8, 0x578, v60
	v_mov_b32_e32 v9, v61
	v_add_co_u32 v10, vcc_lo, v0, v2
	v_add_co_ci_u32_e32 v11, vcc_lo, v1, v3, vcc_lo
	ds_read2_b64 v[2:5], v19 offset0:64 offset1:120
	v_lshlrev_b64 v[14:15], 3, v[6:7]
	v_lshlrev_b64 v[16:17], 3, v[8:9]
	ds_read2_b64 v[6:9], v19 offset0:176 offset1:232
	v_add_nc_u32_e32 v18, 0x5b0, v60
	v_mov_b32_e32 v19, v61
	v_add_nc_u32_e32 v20, 0x5e8, v60
	v_add_co_u32 v14, vcc_lo, v0, v14
	v_add_co_ci_u32_e32 v15, vcc_lo, v1, v15, vcc_lo
	v_lshlrev_b64 v[18:19], 3, v[18:19]
	v_add_co_u32 v16, vcc_lo, v0, v16
	v_add_co_ci_u32_e32 v17, vcc_lo, v1, v17, vcc_lo
	v_add_co_u32 v18, vcc_lo, v0, v18
	v_add_co_ci_u32_e32 v19, vcc_lo, v1, v19, vcc_lo
	global_store_dwordx2 v[10:11], v[12:13], off
	s_waitcnt lgkmcnt(1)
	global_store_dwordx2 v[14:15], v[2:3], off
	global_store_dwordx2 v[16:17], v[4:5], off
	s_waitcnt lgkmcnt(0)
	global_store_dwordx2 v[18:19], v[6:7], off
	v_lshlrev_b64 v[2:3], 3, v[20:21]
	v_add_nc_u32_e32 v12, 0x3000, v22
	v_add_nc_u32_e32 v10, 0x658, v60
	v_mov_b32_e32 v11, v61
	v_add_nc_u32_e32 v6, 0x620, v60
	v_mov_b32_e32 v7, v61
	v_add_co_u32 v14, vcc_lo, v0, v2
	v_add_co_ci_u32_e32 v15, vcc_lo, v1, v3, vcc_lo
	ds_read2_b64 v[2:5], v12 offset0:32 offset1:88
	v_lshlrev_b64 v[16:17], 3, v[10:11]
	ds_read2_b64 v[10:13], v12 offset0:144 offset1:200
	v_lshlrev_b64 v[6:7], 3, v[6:7]
	v_add_nc_u32_e32 v18, 0x690, v60
	v_mov_b32_e32 v19, v61
	v_add_nc_u32_e32 v20, 0x6c8, v60
	v_add_co_u32 v6, vcc_lo, v0, v6
	v_lshlrev_b64 v[18:19], 3, v[18:19]
	v_add_co_ci_u32_e32 v7, vcc_lo, v1, v7, vcc_lo
	v_add_co_u32 v16, vcc_lo, v0, v16
	v_add_co_ci_u32_e32 v17, vcc_lo, v1, v17, vcc_lo
	v_add_co_u32 v18, vcc_lo, v0, v18
	v_add_co_ci_u32_e32 v19, vcc_lo, v1, v19, vcc_lo
	global_store_dwordx2 v[14:15], v[8:9], off
	s_waitcnt lgkmcnt(1)
	global_store_dwordx2 v[6:7], v[2:3], off
	global_store_dwordx2 v[16:17], v[4:5], off
	s_waitcnt lgkmcnt(0)
	global_store_dwordx2 v[18:19], v[10:11], off
	v_lshlrev_b64 v[2:3], 3, v[20:21]
	v_add_nc_u32_e32 v6, 0x700, v60
	v_mov_b32_e32 v7, v61
	v_add_nc_u32_e32 v4, 0x3800, v22
	v_add_nc_u32_e32 v8, 0x738, v60
	v_mov_b32_e32 v9, v61
	v_add_co_u32 v10, vcc_lo, v0, v2
	v_lshlrev_b64 v[6:7], 3, v[6:7]
	v_add_co_ci_u32_e32 v11, vcc_lo, v1, v3, vcc_lo
	ds_read2_b64 v[2:5], v4 offset1:56
	v_add_nc_u32_e32 v16, 0x770, v60
	v_mov_b32_e32 v17, v61
	v_lshlrev_b64 v[8:9], 3, v[8:9]
	ds_read_b64 v[14:15], v22 offset:15232
	v_add_co_u32 v6, vcc_lo, v0, v6
	v_lshlrev_b64 v[16:17], 3, v[16:17]
	v_add_co_ci_u32_e32 v7, vcc_lo, v1, v7, vcc_lo
	v_add_co_u32 v8, vcc_lo, v0, v8
	v_add_co_ci_u32_e32 v9, vcc_lo, v1, v9, vcc_lo
	v_add_co_u32 v16, vcc_lo, v0, v16
	v_add_co_ci_u32_e32 v17, vcc_lo, v1, v17, vcc_lo
	v_cmp_eq_u32_e32 vcc_lo, 55, v60
	global_store_dwordx2 v[10:11], v[12:13], off
	s_waitcnt lgkmcnt(1)
	global_store_dwordx2 v[6:7], v[2:3], off
	global_store_dwordx2 v[8:9], v[4:5], off
	s_waitcnt lgkmcnt(0)
	global_store_dwordx2 v[16:17], v[14:15], off
	s_and_b32 exec_lo, exec_lo, vcc_lo
	s_cbranch_execz .LBB0_28
; %bb.27:
	ds_read_b64 v[2:3], v61 offset:15680
	v_add_co_u32 v0, vcc_lo, 0x3800, v0
	v_add_co_ci_u32_e32 v1, vcc_lo, 0, v1, vcc_lo
	s_waitcnt lgkmcnt(0)
	global_store_dwordx2 v[0:1], v[2:3], off offset:1344
.LBB0_28:
	s_endpgm
	.section	.rodata,"a",@progbits
	.p2align	6, 0x0
	.amdhsa_kernel fft_rtc_back_len1960_factors_4_7_2_7_5_wgs_56_tpt_56_halfLds_sp_op_CI_CI_unitstride_sbrr_R2C_dirReg
		.amdhsa_group_segment_fixed_size 0
		.amdhsa_private_segment_fixed_size 0
		.amdhsa_kernarg_size 104
		.amdhsa_user_sgpr_count 6
		.amdhsa_user_sgpr_private_segment_buffer 1
		.amdhsa_user_sgpr_dispatch_ptr 0
		.amdhsa_user_sgpr_queue_ptr 0
		.amdhsa_user_sgpr_kernarg_segment_ptr 1
		.amdhsa_user_sgpr_dispatch_id 0
		.amdhsa_user_sgpr_flat_scratch_init 0
		.amdhsa_user_sgpr_private_segment_size 0
		.amdhsa_wavefront_size32 1
		.amdhsa_uses_dynamic_stack 0
		.amdhsa_system_sgpr_private_segment_wavefront_offset 0
		.amdhsa_system_sgpr_workgroup_id_x 1
		.amdhsa_system_sgpr_workgroup_id_y 0
		.amdhsa_system_sgpr_workgroup_id_z 0
		.amdhsa_system_sgpr_workgroup_info 0
		.amdhsa_system_vgpr_workitem_id 0
		.amdhsa_next_free_vgpr 160
		.amdhsa_next_free_sgpr 27
		.amdhsa_reserve_vcc 1
		.amdhsa_reserve_flat_scratch 0
		.amdhsa_float_round_mode_32 0
		.amdhsa_float_round_mode_16_64 0
		.amdhsa_float_denorm_mode_32 3
		.amdhsa_float_denorm_mode_16_64 3
		.amdhsa_dx10_clamp 1
		.amdhsa_ieee_mode 1
		.amdhsa_fp16_overflow 0
		.amdhsa_workgroup_processor_mode 1
		.amdhsa_memory_ordered 1
		.amdhsa_forward_progress 0
		.amdhsa_shared_vgpr_count 0
		.amdhsa_exception_fp_ieee_invalid_op 0
		.amdhsa_exception_fp_denorm_src 0
		.amdhsa_exception_fp_ieee_div_zero 0
		.amdhsa_exception_fp_ieee_overflow 0
		.amdhsa_exception_fp_ieee_underflow 0
		.amdhsa_exception_fp_ieee_inexact 0
		.amdhsa_exception_int_div_zero 0
	.end_amdhsa_kernel
	.text
.Lfunc_end0:
	.size	fft_rtc_back_len1960_factors_4_7_2_7_5_wgs_56_tpt_56_halfLds_sp_op_CI_CI_unitstride_sbrr_R2C_dirReg, .Lfunc_end0-fft_rtc_back_len1960_factors_4_7_2_7_5_wgs_56_tpt_56_halfLds_sp_op_CI_CI_unitstride_sbrr_R2C_dirReg
                                        ; -- End function
	.section	.AMDGPU.csdata,"",@progbits
; Kernel info:
; codeLenInByte = 22700
; NumSgprs: 29
; NumVgprs: 160
; ScratchSize: 0
; MemoryBound: 0
; FloatMode: 240
; IeeeMode: 1
; LDSByteSize: 0 bytes/workgroup (compile time only)
; SGPRBlocks: 3
; VGPRBlocks: 19
; NumSGPRsForWavesPerEU: 29
; NumVGPRsForWavesPerEU: 160
; Occupancy: 6
; WaveLimiterHint : 1
; COMPUTE_PGM_RSRC2:SCRATCH_EN: 0
; COMPUTE_PGM_RSRC2:USER_SGPR: 6
; COMPUTE_PGM_RSRC2:TRAP_HANDLER: 0
; COMPUTE_PGM_RSRC2:TGID_X_EN: 1
; COMPUTE_PGM_RSRC2:TGID_Y_EN: 0
; COMPUTE_PGM_RSRC2:TGID_Z_EN: 0
; COMPUTE_PGM_RSRC2:TIDIG_COMP_CNT: 0
	.text
	.p2alignl 6, 3214868480
	.fill 48, 4, 3214868480
	.type	__hip_cuid_58c3757e176eb181,@object ; @__hip_cuid_58c3757e176eb181
	.section	.bss,"aw",@nobits
	.globl	__hip_cuid_58c3757e176eb181
__hip_cuid_58c3757e176eb181:
	.byte	0                               ; 0x0
	.size	__hip_cuid_58c3757e176eb181, 1

	.ident	"AMD clang version 19.0.0git (https://github.com/RadeonOpenCompute/llvm-project roc-6.4.0 25133 c7fe45cf4b819c5991fe208aaa96edf142730f1d)"
	.section	".note.GNU-stack","",@progbits
	.addrsig
	.addrsig_sym __hip_cuid_58c3757e176eb181
	.amdgpu_metadata
---
amdhsa.kernels:
  - .args:
      - .actual_access:  read_only
        .address_space:  global
        .offset:         0
        .size:           8
        .value_kind:     global_buffer
      - .offset:         8
        .size:           8
        .value_kind:     by_value
      - .actual_access:  read_only
        .address_space:  global
        .offset:         16
        .size:           8
        .value_kind:     global_buffer
      - .actual_access:  read_only
        .address_space:  global
        .offset:         24
        .size:           8
        .value_kind:     global_buffer
      - .actual_access:  read_only
        .address_space:  global
        .offset:         32
        .size:           8
        .value_kind:     global_buffer
      - .offset:         40
        .size:           8
        .value_kind:     by_value
      - .actual_access:  read_only
        .address_space:  global
        .offset:         48
        .size:           8
        .value_kind:     global_buffer
      - .actual_access:  read_only
        .address_space:  global
        .offset:         56
        .size:           8
        .value_kind:     global_buffer
      - .offset:         64
        .size:           4
        .value_kind:     by_value
      - .actual_access:  read_only
        .address_space:  global
        .offset:         72
        .size:           8
        .value_kind:     global_buffer
      - .actual_access:  read_only
        .address_space:  global
        .offset:         80
        .size:           8
        .value_kind:     global_buffer
      - .actual_access:  read_only
        .address_space:  global
        .offset:         88
        .size:           8
        .value_kind:     global_buffer
      - .actual_access:  write_only
        .address_space:  global
        .offset:         96
        .size:           8
        .value_kind:     global_buffer
    .group_segment_fixed_size: 0
    .kernarg_segment_align: 8
    .kernarg_segment_size: 104
    .language:       OpenCL C
    .language_version:
      - 2
      - 0
    .max_flat_workgroup_size: 56
    .name:           fft_rtc_back_len1960_factors_4_7_2_7_5_wgs_56_tpt_56_halfLds_sp_op_CI_CI_unitstride_sbrr_R2C_dirReg
    .private_segment_fixed_size: 0
    .sgpr_count:     29
    .sgpr_spill_count: 0
    .symbol:         fft_rtc_back_len1960_factors_4_7_2_7_5_wgs_56_tpt_56_halfLds_sp_op_CI_CI_unitstride_sbrr_R2C_dirReg.kd
    .uniform_work_group_size: 1
    .uses_dynamic_stack: false
    .vgpr_count:     160
    .vgpr_spill_count: 0
    .wavefront_size: 32
    .workgroup_processor_mode: 1
amdhsa.target:   amdgcn-amd-amdhsa--gfx1030
amdhsa.version:
  - 1
  - 2
...

	.end_amdgpu_metadata
